;; amdgpu-corpus repo=ROCm/rocm-examples kind=compiled arch=gfx90a opt=O3
	.text
	.amdgcn_target "amdgcn-amd-amdhsa--gfx90a"
	.amdhsa_code_object_version 6
	.protected	_Z5emptyiPd             ; -- Begin function _Z5emptyiPd
	.globl	_Z5emptyiPd
	.p2align	8
	.type	_Z5emptyiPd,@function
_Z5emptyiPd:                            ; @_Z5emptyiPd
; %bb.0:
	s_endpgm
	.section	.rodata,"a",@progbits
	.p2align	6, 0x0
	.amdhsa_kernel _Z5emptyiPd
		.amdhsa_group_segment_fixed_size 0
		.amdhsa_private_segment_fixed_size 0
		.amdhsa_kernarg_size 16
		.amdhsa_user_sgpr_count 6
		.amdhsa_user_sgpr_private_segment_buffer 1
		.amdhsa_user_sgpr_dispatch_ptr 0
		.amdhsa_user_sgpr_queue_ptr 0
		.amdhsa_user_sgpr_kernarg_segment_ptr 1
		.amdhsa_user_sgpr_dispatch_id 0
		.amdhsa_user_sgpr_flat_scratch_init 0
		.amdhsa_user_sgpr_kernarg_preload_length 0
		.amdhsa_user_sgpr_kernarg_preload_offset 0
		.amdhsa_user_sgpr_private_segment_size 0
		.amdhsa_uses_dynamic_stack 0
		.amdhsa_system_sgpr_private_segment_wavefront_offset 0
		.amdhsa_system_sgpr_workgroup_id_x 1
		.amdhsa_system_sgpr_workgroup_id_y 0
		.amdhsa_system_sgpr_workgroup_id_z 0
		.amdhsa_system_sgpr_workgroup_info 0
		.amdhsa_system_vgpr_workitem_id 0
		.amdhsa_next_free_vgpr 1
		.amdhsa_next_free_sgpr 0
		.amdhsa_accum_offset 4
		.amdhsa_reserve_vcc 0
		.amdhsa_reserve_flat_scratch 0
		.amdhsa_float_round_mode_32 0
		.amdhsa_float_round_mode_16_64 0
		.amdhsa_float_denorm_mode_32 3
		.amdhsa_float_denorm_mode_16_64 3
		.amdhsa_dx10_clamp 1
		.amdhsa_ieee_mode 1
		.amdhsa_fp16_overflow 0
		.amdhsa_tg_split 0
		.amdhsa_exception_fp_ieee_invalid_op 0
		.amdhsa_exception_fp_denorm_src 0
		.amdhsa_exception_fp_ieee_div_zero 0
		.amdhsa_exception_fp_ieee_overflow 0
		.amdhsa_exception_fp_ieee_underflow 0
		.amdhsa_exception_fp_ieee_inexact 0
		.amdhsa_exception_int_div_zero 0
	.end_amdhsa_kernel
	.text
.Lfunc_end0:
	.size	_Z5emptyiPd, .Lfunc_end0-_Z5emptyiPd
                                        ; -- End function
	.section	.AMDGPU.csdata,"",@progbits
; Kernel info:
; codeLenInByte = 4
; NumSgprs: 4
; NumVgprs: 0
; NumAgprs: 0
; TotalNumVgprs: 0
; ScratchSize: 0
; MemoryBound: 0
; FloatMode: 240
; IeeeMode: 1
; LDSByteSize: 0 bytes/workgroup (compile time only)
; SGPRBlocks: 0
; VGPRBlocks: 0
; NumSGPRsForWavesPerEU: 4
; NumVGPRsForWavesPerEU: 1
; AccumOffset: 4
; Occupancy: 8
; WaveLimiterHint : 0
; COMPUTE_PGM_RSRC2:SCRATCH_EN: 0
; COMPUTE_PGM_RSRC2:USER_SGPR: 6
; COMPUTE_PGM_RSRC2:TRAP_HANDLER: 0
; COMPUTE_PGM_RSRC2:TGID_X_EN: 1
; COMPUTE_PGM_RSRC2:TGID_Y_EN: 0
; COMPUTE_PGM_RSRC2:TGID_Z_EN: 0
; COMPUTE_PGM_RSRC2:TIDIG_COMP_CNT: 0
; COMPUTE_PGM_RSRC3_GFX90A:ACCUM_OFFSET: 0
; COMPUTE_PGM_RSRC3_GFX90A:TG_SPLIT: 0
	.text
	.protected	_Z9vgprboundiPd         ; -- Begin function _Z9vgprboundiPd
	.globl	_Z9vgprboundiPd
	.p2align	8
	.type	_Z9vgprboundiPd,@function
_Z9vgprboundiPd:                        ; @_Z9vgprboundiPd
; %bb.0:
	s_load_dword s33, s[4:5], 0x0
	s_load_dwordx2 s[0:1], s[4:5], 0x8
	v_lshlrev_b32_e32 v1, 3, v0
	s_mov_b32 s6, 0x55555555
	s_mov_b32 s8, 0x55555555
	s_waitcnt lgkmcnt(0)
	v_mul_lo_u32 v0, v0, s33
	global_load_dwordx2 v[34:35], v1, s[0:1]
	v_mov_b32_e32 v2, s1
	v_add_co_u32_e32 v32, vcc, s0, v1
	v_addc_co_u32_e32 v33, vcc, 0, v2, vcc
	v_mbcnt_lo_u32_b32 v2, -1, 0
	v_mbcnt_hi_u32_b32 v2, -1, v2
	s_mov_b32 s10, 0x4222de17
	s_mov_b32 s12, 0xfefa39ef
	;; [unrolled: 1-line block ×18, first 2 shown]
	v_cvt_f64_u32_e32 v[0:1], v0
	s_mov_b32 s58, 0
	v_and_b32_e32 v96, 64, v2
	s_brev_b32 s59, -2
	s_mov_b32 s7, 0x3fe55555
	s_mov_b32 s9, 0xbfc55555
	;; [unrolled: 1-line block ×7, first 2 shown]
	s_movk_i32 s60, 0x204
	s_mov_b32 s21, 0x7ff00000
	s_mov_b32 s23, 0x3ff71547
	;; [unrolled: 1-line block ×11, first 2 shown]
	s_movk_i32 s61, 0xff80
	s_mov_b32 s41, 0x3ff921fb
	s_mov_b32 s43, 0xbff921fb
	;; [unrolled: 1-line block ×9, first 2 shown]
	v_mov_b32_e32 v36, 11
	v_mov_b32_e32 v38, 0x968915a9
	;; [unrolled: 1-line block ×48, first 2 shown]
	v_pk_mov_b32 v[2:3], v[0:1], v[0:1] op_sel:[0,1]
	v_pk_mov_b32 v[4:5], v[0:1], v[0:1] op_sel:[0,1]
	;; [unrolled: 1-line block ×15, first 2 shown]
	v_mov_b32_e32 v97, 0x3ff00000
	v_mov_b32_e32 v98, 0x7ff00000
	;; [unrolled: 1-line block ×6, first 2 shown]
	s_branch .LBB1_2
.LBB1_1:                                ;   in Loop: Header=BB1_2 Depth=1
	s_or_b64 exec, exec, s[0:1]
	v_mul_f64 v[100:101], v[92:93], v[92:93]
	v_pk_mov_b32 v[108:109], v[70:71], v[70:71] op_sel:[0,1]
	v_mul_f64 v[102:103], v[100:101], 0.5
	v_fmac_f64_e32 v[108:109], s[54:55], v[100:101]
	v_pk_mov_b32 v[110:111], v[72:73], v[72:73] op_sel:[0,1]
	v_add_f64 v[104:105], -v[102:103], 1.0
	v_fmac_f64_e32 v[110:111], v[100:101], v[108:109]
	v_pk_mov_b32 v[108:109], v[74:75], v[74:75] op_sel:[0,1]
	v_add_f64 v[106:107], -v[104:105], 1.0
	v_fmac_f64_e32 v[108:109], v[100:101], v[110:111]
	v_pk_mov_b32 v[110:111], v[76:77], v[76:77] op_sel:[0,1]
	v_add_f64 v[102:103], v[106:107], -v[102:103]
	v_fmac_f64_e32 v[110:111], v[100:101], v[108:109]
	v_pk_mov_b32 v[108:109], v[66:67], v[66:67] op_sel:[0,1]
	v_mul_f64 v[106:107], v[100:101], v[100:101]
	v_fmac_f64_e32 v[108:109], v[100:101], v[110:111]
	v_fma_f64 v[102:103], v[92:93], -v[94:95], v[102:103]
	v_fmac_f64_e32 v[102:103], v[106:107], v[108:109]
	v_add_f64 v[102:103], v[104:105], v[102:103]
	v_pk_mov_b32 v[104:105], v[78:79], v[78:79] op_sel:[0,1]
	v_fmac_f64_e32 v[104:105], s[56:57], v[100:101]
	v_pk_mov_b32 v[106:107], v[80:81], v[80:81] op_sel:[0,1]
	v_fmac_f64_e32 v[106:107], v[100:101], v[104:105]
	;; [unrolled: 2-line block ×4, first 2 shown]
	v_mul_f64 v[104:105], v[92:93], -v[100:101]
	v_mul_f64 v[108:109], v[94:95], 0.5
	v_fmac_f64_e32 v[108:109], v[104:105], v[106:107]
	v_fma_f64 v[94:95], v[100:101], v[108:109], -v[94:95]
	v_cndmask_b32_e32 v85, v87, v99, vcc
	v_fmac_f64_e32 v[94:95], s[8:9], v[104:105]
	v_and_b32_e32 v87, 1, v89
	v_lshlrev_b32_e32 v89, 30, v89
	v_add_f64 v[92:93], v[92:93], -v[94:95]
	v_cmp_eq_u32_e32 vcc, 0, v87
	v_xor_b32_e32 v85, v89, v85
	v_cndmask_b32_e32 v87, v102, v92, vcc
	v_cndmask_b32_e32 v92, v103, v93, vcc
	v_and_b32_e32 v85, 0x80000000, v85
	v_xor_b32_e32 v85, v92, v85
	v_cmp_lg_f64_e32 vcc, s[20:21], v[90:91]
	v_cndmask_b32_e32 v90, 0, v87, vcc
	v_cndmask_b32_e32 v91, v99, v85, vcc
	s_add_i32 s58, s58, 1
	v_add_f64 v[34:35], v[34:35], v[90:91]
	s_set_gpr_idx_on s62, gpr_idx(DST)
	v_mov_b32_e32 v0, v34
	s_cmpk_eq_i32 s58, 0x64
	v_mov_b32_e32 v1, v35
	s_set_gpr_idx_off
	s_cbranch_scc1 .LBB1_10
.LBB1_2:                                ; =>This Loop Header: Depth=1
                                        ;     Child Loop BB1_3 Depth 2
                                        ;     Child Loop BB1_5 Depth 2
	v_and_or_b32 v85, s58, 63, v96
	v_lshlrev_b32_e32 v85, 2, v85
	s_waitcnt vmcnt(0)
	ds_bpermute_b32 v90, v85, v34
	ds_bpermute_b32 v91, v85, v35
	v_add_u16_e64 v85, s58, -1
	v_lshrrev_b16_sdwa v87, v36, sext(v85) dst_sel:DWORD dst_unused:UNUSED_PAD src0_sel:DWORD src1_sel:BYTE_0
	v_and_b32_e32 v87, 15, v87
	v_add_u16_e32 v87, v85, v87
	v_and_b32_e32 v87, 0xf0, v87
	v_sub_u16_e32 v85, v85, v87
	v_mov_b32_e32 v87, 1
	v_lshlrev_b32_sdwa v85, v87, sext(v85) dst_sel:DWORD dst_unused:UNUSED_PAD src0_sel:DWORD src1_sel:BYTE_0
	s_mov_b64 s[0:1], exec
.LBB1_3:                                ;   Parent Loop BB1_2 Depth=1
                                        ; =>  This Inner Loop Header: Depth=2
	v_readfirstlane_b32 s2, v85
	v_cmp_eq_u32_e32 vcc, s2, v85
	s_and_saveexec_b64 vcc, vcc
	s_set_gpr_idx_on s2, gpr_idx(SRC0)
	v_mov_b32_e32 v93, v1
	s_set_gpr_idx_off
	s_xor_b64 exec, exec, vcc
	s_cbranch_execnz .LBB1_3
; %bb.4:                                ;   in Loop: Header=BB1_2 Depth=1
	s_mov_b64 exec, s[0:1]
	s_mov_b64 s[0:1], exec
.LBB1_5:                                ;   Parent Loop BB1_2 Depth=1
                                        ; =>  This Inner Loop Header: Depth=2
	v_readfirstlane_b32 s2, v85
	v_cmp_eq_u32_e32 vcc, s2, v85
	s_and_saveexec_b64 vcc, vcc
	s_set_gpr_idx_on s2, gpr_idx(SRC0)
	v_mov_b32_e32 v92, v0
	s_set_gpr_idx_off
	s_xor_b64 exec, exec, vcc
	s_cbranch_execnz .LBB1_5
; %bb.6:                                ;   in Loop: Header=BB1_2 Depth=1
	s_mov_b64 exec, s[0:1]
	s_and_b32 s0, s58, 15
	s_lshl_b32 s62, s0, 1
	s_waitcnt lgkmcnt(0)
	v_mul_f64 v[94:95], v[92:93], v[90:91]
	s_set_gpr_idx_on s62, gpr_idx(SRC0)
	v_mov_b32_e32 v122, v1
	v_mov_b32_e32 v85, v0
	s_set_gpr_idx_off
	v_cmp_eq_f64_e32 vcc, 1.0, v[94:95]
	v_cndmask_b32_e32 v91, v122, v97, vcc
	v_cndmask_b32_e64 v90, v85, 0, vcc
	v_cmp_eq_f64_e64 s[0:1], 0, v[90:91]
	v_and_b32_e32 v85, 0x7fffffff, v95
	v_cndmask_b32_e64 v93, v95, v97, s[0:1]
	v_cndmask_b32_e64 v92, v94, 0, s[0:1]
	;; [unrolled: 1-line block ×4, first 2 shown]
	v_frexp_mant_f64_e32 v[100:101], v[94:95]
	v_cmp_gt_f64_e64 s[0:1], s[6:7], v[100:101]
	v_cndmask_b32_e64 v85, v97, 2.0, s[0:1]
	v_mul_f64 v[100:101], v[100:101], v[84:85]
	v_add_f64 v[102:103], v[100:101], 1.0
	v_rcp_f64_e32 v[104:105], v[102:103]
	v_add_f64 v[108:109], v[102:103], -1.0
	v_add_f64 v[106:107], v[100:101], -1.0
	v_add_f64 v[100:101], v[100:101], -v[108:109]
	v_fma_f64 v[108:109], -v[102:103], v[104:105], 1.0
	v_fmac_f64_e32 v[104:105], v[108:109], v[104:105]
	v_fma_f64 v[108:109], -v[102:103], v[104:105], 1.0
	v_fmac_f64_e32 v[104:105], v[108:109], v[104:105]
	v_mul_f64 v[108:109], v[106:107], v[104:105]
	v_mul_f64 v[110:111], v[102:103], v[108:109]
	v_fma_f64 v[102:103], v[108:109], v[102:103], -v[110:111]
	v_fmac_f64_e32 v[102:103], v[108:109], v[100:101]
	v_add_f64 v[100:101], v[110:111], v[102:103]
	v_add_f64 v[112:113], v[106:107], -v[100:101]
	v_add_f64 v[110:111], v[100:101], -v[110:111]
	;; [unrolled: 1-line block ×5, first 2 shown]
	v_add_f64 v[100:101], v[102:103], v[100:101]
	v_add_f64 v[100:101], v[112:113], v[100:101]
	v_mul_f64 v[100:101], v[104:105], v[100:101]
	v_add_f64 v[102:103], v[108:109], v[100:101]
	v_add_f64 v[104:105], v[102:103], -v[108:109]
	v_add_f64 v[100:101], v[100:101], -v[104:105]
	v_mul_f64 v[104:105], v[102:103], v[102:103]
	v_fma_f64 v[106:107], v[102:103], v[102:103], -v[104:105]
	v_add_f64 v[108:109], v[100:101], v[100:101]
	v_fmac_f64_e32 v[106:107], v[102:103], v[108:109]
	v_add_f64 v[108:109], v[104:105], v[106:107]
	v_add_f64 v[104:105], v[108:109], -v[104:105]
	v_add_f64 v[104:105], v[106:107], -v[104:105]
	v_pk_mov_b32 v[106:107], v[38:39], v[38:39] op_sel:[0,1]
	v_fmac_f64_e32 v[106:107], s[10:11], v[108:109]
	v_pk_mov_b32 v[110:111], v[40:41], v[40:41] op_sel:[0,1]
	v_fmac_f64_e32 v[110:111], v[108:109], v[106:107]
	v_pk_mov_b32 v[106:107], v[42:43], v[42:43] op_sel:[0,1]
	v_fmac_f64_e32 v[106:107], v[108:109], v[110:111]
	v_pk_mov_b32 v[110:111], v[44:45], v[44:45] op_sel:[0,1]
	v_fmac_f64_e32 v[110:111], v[108:109], v[106:107]
	v_pk_mov_b32 v[106:107], v[46:47], v[46:47] op_sel:[0,1]
	v_fmac_f64_e32 v[106:107], v[108:109], v[110:111]
	v_pk_mov_b32 v[110:111], v[48:49], v[48:49] op_sel:[0,1]
	v_frexp_exp_i32_f64_e32 v87, v[94:95]
	v_fmac_f64_e32 v[110:111], v[108:109], v[106:107]
	v_pk_mov_b32 v[106:107], v[50:51], v[50:51] op_sel:[0,1]
	v_subbrev_co_u32_e64 v85, s[0:1], 0, v87, s[0:1]
	v_fmac_f64_e32 v[106:107], v[108:109], v[110:111]
	v_pk_mov_b32 v[110:111], v[52:53], v[52:53] op_sel:[0,1]
	v_fmac_f64_e32 v[110:111], v[108:109], v[106:107]
	v_cvt_f64_i32_e32 v[106:107], v85
	v_mul_f64 v[112:113], v[106:107], s[12:13]
	v_mul_f64 v[118:119], v[102:103], v[108:109]
	v_fma_f64 v[114:115], v[106:107], s[12:13], -v[112:113]
	v_fma_f64 v[120:121], v[108:109], v[102:103], -v[118:119]
	v_fmac_f64_e32 v[114:115], s[14:15], v[106:107]
	v_fmac_f64_e32 v[120:121], v[108:109], v[100:101]
	v_add_f64 v[106:107], v[112:113], v[114:115]
	v_fmac_f64_e32 v[120:121], v[104:105], v[102:103]
	v_add_f64 v[112:113], v[106:107], -v[112:113]
	v_ldexp_f64 v[116:117], v[100:101], 1
	v_add_f64 v[100:101], v[118:119], v[120:121]
	v_add_f64 v[112:113], v[114:115], -v[112:113]
	v_ldexp_f64 v[114:115], v[102:103], 1
	v_add_f64 v[102:103], v[100:101], -v[118:119]
	v_mul_f64 v[118:119], v[108:109], v[110:111]
	v_fma_f64 v[108:109], v[108:109], v[110:111], -v[118:119]
	v_fmac_f64_e32 v[108:109], v[104:105], v[110:111]
	v_add_f64 v[104:105], v[118:119], v[108:109]
	v_add_f64 v[110:111], v[104:105], -v[118:119]
	v_add_f64 v[108:109], v[108:109], -v[110:111]
	v_add_f64 v[110:111], v[104:105], s[6:7]
	v_add_f64 v[118:119], v[110:111], s[16:17]
	v_add_f64 v[104:105], v[104:105], -v[118:119]
	v_add_f64 v[108:109], v[108:109], s[18:19]
	v_add_f64 v[104:105], v[108:109], v[104:105]
	;; [unrolled: 1-line block ×3, first 2 shown]
	v_add_f64 v[110:111], v[110:111], -v[108:109]
	v_add_f64 v[104:105], v[104:105], v[110:111]
	v_mul_f64 v[110:111], v[100:101], v[108:109]
	v_fma_f64 v[118:119], v[100:101], v[108:109], -v[110:111]
	v_add_f64 v[102:103], v[120:121], -v[102:103]
	v_fmac_f64_e32 v[118:119], v[100:101], v[104:105]
	v_fmac_f64_e32 v[118:119], v[102:103], v[108:109]
	v_add_f64 v[100:101], v[110:111], v[118:119]
	v_add_f64 v[102:103], v[100:101], -v[110:111]
	v_add_f64 v[104:105], v[114:115], v[100:101]
	v_add_f64 v[102:103], v[118:119], -v[102:103]
	v_add_f64 v[108:109], v[104:105], -v[114:115]
	;; [unrolled: 1-line block ×3, first 2 shown]
	v_add_f64 v[102:103], v[116:117], v[102:103]
	v_add_f64 v[100:101], v[102:103], v[100:101]
	;; [unrolled: 1-line block ×3, first 2 shown]
	v_add_f64 v[104:105], v[102:103], -v[104:105]
	v_add_f64 v[100:101], v[100:101], -v[104:105]
	v_add_f64 v[104:105], v[106:107], v[102:103]
	v_add_f64 v[108:109], v[104:105], -v[106:107]
	v_add_f64 v[110:111], v[104:105], -v[108:109]
	;; [unrolled: 1-line block ×4, first 2 shown]
	v_add_f64 v[102:103], v[102:103], v[106:107]
	v_add_f64 v[106:107], v[112:113], v[100:101]
	v_add_f64 v[108:109], v[106:107], -v[112:113]
	v_add_f64 v[102:103], v[106:107], v[102:103]
	v_add_f64 v[110:111], v[106:107], -v[108:109]
	;; [unrolled: 2-line block ×3, first 2 shown]
	v_add_f64 v[100:101], v[100:101], -v[108:109]
	v_add_f64 v[104:105], v[106:107], -v[104:105]
	v_add_f64 v[100:101], v[100:101], v[110:111]
	v_add_f64 v[102:103], v[102:103], -v[104:105]
	v_add_f64 v[100:101], v[100:101], v[102:103]
	v_add_f64 v[102:103], v[106:107], v[100:101]
	v_add_f64 v[104:105], v[102:103], -v[106:107]
	v_add_f64 v[100:101], v[100:101], -v[104:105]
	v_mul_f64 v[104:105], v[90:91], v[102:103]
	v_fma_f64 v[102:103], v[90:91], v[102:103], -v[104:105]
	v_fmac_f64_e32 v[102:103], v[90:91], v[100:101]
	v_add_f64 v[100:101], v[104:105], v[102:103]
	v_cmp_class_f64_e64 s[0:1], v[104:105], s60
	v_add_f64 v[106:107], v[100:101], -v[104:105]
	v_cndmask_b32_e64 v101, v101, v105, s[0:1]
	v_cndmask_b32_e64 v100, v100, v104, s[0:1]
	v_mul_f64 v[104:105], v[100:101], s[22:23]
	v_rndne_f64_e32 v[104:105], v[104:105]
	v_add_f64 v[102:103], v[102:103], -v[106:107]
	v_fma_f64 v[106:107], s[24:25], v[104:105], v[100:101]
	v_fmac_f64_e32 v[106:107], s[26:27], v[104:105]
	v_pk_mov_b32 v[108:109], v[54:55], v[54:55] op_sel:[0,1]
	v_fmac_f64_e32 v[108:109], s[28:29], v[106:107]
	v_pk_mov_b32 v[110:111], v[56:57], v[56:57] op_sel:[0,1]
	;; [unrolled: 2-line block ×5, first 2 shown]
	v_mov_b32_e32 v87, v65
	v_fmac_f64_e32 v[108:109], v[106:107], v[110:111]
	v_pk_mov_b32 v[110:111], v[86:87], v[86:87] op_sel:[0,1]
	v_mov_b32_e32 v89, v67
	v_fmac_f64_e32 v[110:111], v[106:107], v[108:109]
	v_pk_mov_b32 v[108:109], v[88:89], v[88:89] op_sel:[0,1]
	v_fmac_f64_e32 v[108:109], v[106:107], v[110:111]
	v_pk_mov_b32 v[110:111], v[68:69], v[68:69] op_sel:[0,1]
	;; [unrolled: 2-line block ×3, first 2 shown]
	v_fmac_f64_e32 v[108:109], v[106:107], v[110:111]
	v_fma_f64 v[108:109], v[106:107], v[108:109], 1.0
	v_cmp_neq_f64_e64 s[0:1], |v[100:101]|, s[20:21]
	v_fma_f64 v[106:107], v[106:107], v[108:109], 1.0
	v_cvt_i32_f64_e32 v85, v[104:105]
	v_cndmask_b32_e64 v103, 0, v103, s[0:1]
	v_cndmask_b32_e64 v102, 0, v102, s[0:1]
	v_ldexp_f64 v[104:105], v[106:107], v85
	v_cmp_lt_f64_e64 s[0:1], s[30:31], v[100:101]
	v_cndmask_b32_e64 v85, v104, 0, s[0:1]
	v_cndmask_b32_e64 v87, v105, v98, s[0:1]
	v_cmp_ngt_f64_e64 s[2:3], s[34:35], v[100:101]
	v_and_b32_e32 v105, 0x7fffffff, v105
	v_cndmask_b32_e64 v101, 0, v87, s[2:3]
	v_cndmask_b32_e64 v100, 0, v85, s[2:3]
	v_cmp_eq_f64_e64 s[4:5], s[20:21], v[104:105]
	v_pk_mov_b32 v[106:107], v[100:101], v[100:101] op_sel:[0,1]
	s_or_b64 s[0:1], s[0:1], s[4:5]
	v_fmac_f64_e32 v[106:107], v[106:107], v[102:103]
	s_and_b64 s[0:1], s[2:3], s[0:1]
	v_cndmask_b32_e64 v85, v106, v100, s[0:1]
	v_cndmask_b32_e64 v87, v107, v101, s[0:1]
	v_trunc_f64_e32 v[100:101], v[90:91]
	v_cmp_eq_f64_e64 s[0:1], v[100:101], v[90:91]
	v_mul_f64 v[100:101], v[90:91], 0.5
	v_trunc_f64_e32 v[102:103], v[100:101]
	v_cmp_neq_f64_e64 s[2:3], v[102:103], v[100:101]
	s_and_b64 s[2:3], s[0:1], s[2:3]
	v_cndmask_b32_e64 v89, v97, v93, s[2:3]
	v_bfi_b32 v87, s59, v87, v89
	v_cndmask_b32_e64 v89, v99, v87, s[0:1]
	v_cndmask_b32_e64 v100, 0, v85, s[0:1]
	v_cmp_gt_f64_e64 s[0:1], 0, v[92:93]
	v_cndmask_b32_e64 v87, v87, v89, s[0:1]
	v_and_b32_e32 v89, 0x7fffffff, v122
	v_cndmask_b32_e64 v85, v85, v100, s[0:1]
	v_cndmask_b32_e32 v101, v89, v97, vcc
	v_mov_b32_e32 v100, v90
	v_cmp_neq_f64_e32 vcc, v[90:91], v[100:101]
	v_cmp_gt_f64_e64 s[0:1], 1.0, v[94:95]
	s_xor_b64 s[0:1], vcc, s[0:1]
	v_cndmask_b32_e64 v89, v101, 0, s[0:1]
	v_cndmask_b32_e64 v102, v90, 0, s[0:1]
	v_cmp_eq_f64_e32 vcc, 1.0, v[94:95]
	v_cmp_eq_f64_e64 s[0:1], 0, v[92:93]
	v_cmp_gt_f64_e64 s[4:5], 0, v[90:91]
	v_cndmask_b32_e32 v102, v102, v94, vcc
	v_cndmask_b32_e32 v89, v89, v95, vcc
	v_cmp_eq_f64_e32 vcc, s[20:21], v[100:101]
	s_xor_b64 s[4:5], s[4:5], s[0:1]
	v_cndmask_b32_e32 v87, v87, v89, vcc
	v_cndmask_b32_e32 v85, v85, v102, vcc
	v_cmp_eq_f64_e32 vcc, s[20:21], v[94:95]
	v_cndmask_b32_e64 v89, v98, 0, s[4:5]
	v_cndmask_b32_e64 v94, 0, v93, s[2:3]
	v_bfi_b32 v89, s59, v89, v94
	s_or_b64 vcc, vcc, s[0:1]
	v_cndmask_b32_e32 v87, v87, v89, vcc
	v_cndmask_b32_e64 v85, v85, 0, vcc
	v_and_b32_e32 v89, 0x7fffffff, v87
	v_cmp_u_f64_e32 vcc, v[92:93], v[90:91]
	v_cndmask_b32_e32 v91, v89, v99, vcc
	v_cndmask_b32_e64 v90, v85, 0, vcc
	v_cmp_ngt_f64_e64 s[0:1], s[36:37], v[90:91]
                                        ; implicit-def: $vgpr89
                                        ; implicit-def: $vgpr92_vgpr93
                                        ; implicit-def: $vgpr94_vgpr95
	s_and_saveexec_b64 s[2:3], s[0:1]
	s_xor_b64 s[4:5], exec, s[2:3]
	s_cbranch_execz .LBB1_8
; %bb.7:                                ;   in Loop: Header=BB1_2 Depth=1
	v_ldexp_f64 v[100:101], v[90:91], s61
	v_cmp_le_f64_e64 s[0:1], s[38:39], v[90:91]
	v_trig_preop_f64 v[92:93], v[90:91], 0
	v_cndmask_b32_e64 v101, v91, v101, s[0:1]
	v_cndmask_b32_e64 v100, v90, v100, s[0:1]
	v_trig_preop_f64 v[94:95], v[90:91], 1
	v_mul_f64 v[104:105], v[92:93], v[100:101]
	v_mul_f64 v[102:103], v[94:95], v[100:101]
	v_fma_f64 v[92:93], v[92:93], v[100:101], -v[104:105]
	v_add_f64 v[106:107], v[102:103], v[92:93]
	v_add_f64 v[108:109], v[104:105], v[106:107]
	v_ldexp_f64 v[110:111], v[108:109], -2
	v_fract_f64_e32 v[112:113], v[110:111]
	v_cmp_neq_f64_e64 s[0:1], |v[110:111]|, s[20:21]
	v_cndmask_b32_e64 v111, 0, v113, s[0:1]
	v_cndmask_b32_e64 v110, 0, v112, s[0:1]
	v_add_f64 v[112:113], v[106:107], -v[102:103]
	v_add_f64 v[92:93], v[92:93], -v[112:113]
	;; [unrolled: 1-line block ×4, first 2 shown]
	v_fma_f64 v[94:95], v[94:95], v[100:101], -v[102:103]
	v_trig_preop_f64 v[102:103], v[90:91], 2
	v_add_f64 v[92:93], v[92:93], v[112:113]
	v_mul_f64 v[112:113], v[102:103], v[100:101]
	v_add_f64 v[114:115], v[112:113], v[94:95]
	v_add_f64 v[116:117], v[114:115], v[92:93]
	v_add_f64 v[104:105], v[108:109], -v[104:105]
	v_add_f64 v[108:109], v[116:117], -v[114:115]
	v_add_f64 v[92:93], v[92:93], -v[108:109]
	v_add_f64 v[108:109], v[116:117], -v[108:109]
	v_add_f64 v[108:109], v[114:115], -v[108:109]
	v_add_f64 v[92:93], v[92:93], v[108:109]
	v_add_f64 v[108:109], v[114:115], -v[112:113]
	v_add_f64 v[94:95], v[94:95], -v[108:109]
	;; [unrolled: 1-line block ×4, first 2 shown]
	v_add_f64 v[94:95], v[94:95], v[108:109]
	v_add_f64 v[104:105], v[106:107], -v[104:105]
	v_add_f64 v[92:93], v[94:95], v[92:93]
	v_fma_f64 v[94:95], v[102:103], v[100:101], -v[112:113]
	v_add_f64 v[106:107], v[104:105], v[116:117]
	v_add_f64 v[92:93], v[94:95], v[92:93]
	v_ldexp_f64 v[94:95], v[110:111], 2
	v_add_f64 v[100:101], v[106:107], v[94:95]
	v_cmp_gt_f64_e64 s[0:1], 0, v[100:101]
	v_mov_b32_e32 v85, 0x40100000
	v_cndmask_b32_e64 v85, 0, v85, s[0:1]
	v_add_f64 v[94:95], v[94:95], v[84:85]
	v_add_f64 v[100:101], v[106:107], v[94:95]
	v_cvt_i32_f64_e32 v85, v[100:101]
	v_cvt_f64_i32_e32 v[100:101], v85
	v_add_f64 v[94:95], v[94:95], -v[100:101]
	v_add_f64 v[104:105], v[106:107], -v[104:105]
	v_add_f64 v[100:101], v[106:107], v[94:95]
	v_add_f64 v[104:105], v[116:117], -v[104:105]
	v_add_f64 v[94:95], v[100:101], -v[94:95]
	v_cmp_le_f64_e64 s[0:1], 0.5, v[100:101]
	v_add_f64 v[92:93], v[104:105], v[92:93]
	v_add_f64 v[94:95], v[106:107], -v[94:95]
	v_addc_co_u32_e64 v89, s[2:3], 0, v85, s[0:1]
	v_cndmask_b32_e64 v85, 0, v97, s[0:1]
	v_add_f64 v[92:93], v[92:93], v[94:95]
	v_add_f64 v[94:95], v[100:101], -v[84:85]
	v_add_f64 v[100:101], v[94:95], v[92:93]
	v_add_f64 v[94:95], v[100:101], -v[94:95]
	s_mov_b32 s40, s42
	v_add_f64 v[92:93], v[92:93], -v[94:95]
	v_mul_f64 v[94:95], v[100:101], s[40:41]
	v_fma_f64 v[102:103], v[100:101], s[40:41], -v[94:95]
	s_mov_b32 s47, s45
	v_fmac_f64_e32 v[102:103], s[46:47], v[100:101]
	v_fmac_f64_e32 v[102:103], s[40:41], v[92:93]
	v_add_f64 v[92:93], v[94:95], v[102:103]
	v_add_f64 v[94:95], v[92:93], -v[94:95]
	v_add_f64 v[94:95], v[102:103], -v[94:95]
.LBB1_8:                                ;   in Loop: Header=BB1_2 Depth=1
	s_andn2_saveexec_b64 s[0:1], s[4:5]
	s_cbranch_execz .LBB1_1
; %bb.9:                                ;   in Loop: Header=BB1_2 Depth=1
	v_mul_f64 v[92:93], v[90:91], s[48:49]
	v_rndne_f64_e32 v[100:101], v[92:93]
	v_fma_f64 v[92:93], s[42:43], v[100:101], v[90:91]
	v_mul_f64 v[102:103], v[100:101], s[50:51]
	v_add_f64 v[106:107], v[92:93], v[102:103]
	v_fma_f64 v[94:95], s[50:51], v[100:101], v[92:93]
	s_mov_b32 s44, s50
	v_add_f64 v[92:93], v[92:93], -v[106:107]
	v_fma_f64 v[104:105], s[44:45], v[100:101], v[102:103]
	v_add_f64 v[92:93], v[92:93], v[102:103]
	v_add_f64 v[102:103], v[106:107], -v[94:95]
	v_add_f64 v[92:93], v[102:103], v[92:93]
	v_add_f64 v[102:103], v[92:93], -v[104:105]
	v_fmac_f64_e32 v[102:103], s[52:53], v[100:101]
	v_add_f64 v[92:93], v[94:95], v[102:103]
	v_add_f64 v[94:95], v[92:93], -v[94:95]
	v_add_f64 v[94:95], v[102:103], -v[94:95]
	v_cvt_i32_f64_e32 v89, v[100:101]
	s_branch .LBB1_1
.LBB1_10:
	v_cvt_f64_i32_e32 v[0:1], s33
	v_cmp_eq_f64_e32 vcc, v[34:35], v[0:1]
	s_and_saveexec_b64 s[0:1], vcc
	s_cbranch_execz .LBB1_12
; %bb.11:
	global_store_dwordx2 v[32:33], v[34:35], off
.LBB1_12:
	s_endpgm
	.section	.rodata,"a",@progbits
	.p2align	6, 0x0
	.amdhsa_kernel _Z9vgprboundiPd
		.amdhsa_group_segment_fixed_size 0
		.amdhsa_private_segment_fixed_size 0
		.amdhsa_kernarg_size 16
		.amdhsa_user_sgpr_count 6
		.amdhsa_user_sgpr_private_segment_buffer 1
		.amdhsa_user_sgpr_dispatch_ptr 0
		.amdhsa_user_sgpr_queue_ptr 0
		.amdhsa_user_sgpr_kernarg_segment_ptr 1
		.amdhsa_user_sgpr_dispatch_id 0
		.amdhsa_user_sgpr_flat_scratch_init 0
		.amdhsa_user_sgpr_kernarg_preload_length 0
		.amdhsa_user_sgpr_kernarg_preload_offset 0
		.amdhsa_user_sgpr_private_segment_size 0
		.amdhsa_uses_dynamic_stack 0
		.amdhsa_system_sgpr_private_segment_wavefront_offset 0
		.amdhsa_system_sgpr_workgroup_id_x 1
		.amdhsa_system_sgpr_workgroup_id_y 0
		.amdhsa_system_sgpr_workgroup_id_z 0
		.amdhsa_system_sgpr_workgroup_info 0
		.amdhsa_system_vgpr_workitem_id 0
		.amdhsa_next_free_vgpr 123
		.amdhsa_next_free_sgpr 63
		.amdhsa_accum_offset 124
		.amdhsa_reserve_vcc 1
		.amdhsa_reserve_flat_scratch 0
		.amdhsa_float_round_mode_32 0
		.amdhsa_float_round_mode_16_64 0
		.amdhsa_float_denorm_mode_32 3
		.amdhsa_float_denorm_mode_16_64 3
		.amdhsa_dx10_clamp 1
		.amdhsa_ieee_mode 1
		.amdhsa_fp16_overflow 0
		.amdhsa_tg_split 0
		.amdhsa_exception_fp_ieee_invalid_op 0
		.amdhsa_exception_fp_denorm_src 0
		.amdhsa_exception_fp_ieee_div_zero 0
		.amdhsa_exception_fp_ieee_overflow 0
		.amdhsa_exception_fp_ieee_underflow 0
		.amdhsa_exception_fp_ieee_inexact 0
		.amdhsa_exception_int_div_zero 0
	.end_amdhsa_kernel
	.text
.Lfunc_end1:
	.size	_Z9vgprboundiPd, .Lfunc_end1-_Z9vgprboundiPd
                                        ; -- End function
	.section	.AMDGPU.csdata,"",@progbits
; Kernel info:
; codeLenInByte = 3792
; NumSgprs: 67
; NumVgprs: 123
; NumAgprs: 0
; TotalNumVgprs: 123
; ScratchSize: 0
; MemoryBound: 0
; FloatMode: 240
; IeeeMode: 1
; LDSByteSize: 0 bytes/workgroup (compile time only)
; SGPRBlocks: 8
; VGPRBlocks: 15
; NumSGPRsForWavesPerEU: 67
; NumVGPRsForWavesPerEU: 123
; AccumOffset: 124
; Occupancy: 4
; WaveLimiterHint : 0
; COMPUTE_PGM_RSRC2:SCRATCH_EN: 0
; COMPUTE_PGM_RSRC2:USER_SGPR: 6
; COMPUTE_PGM_RSRC2:TRAP_HANDLER: 0
; COMPUTE_PGM_RSRC2:TGID_X_EN: 1
; COMPUTE_PGM_RSRC2:TGID_Y_EN: 0
; COMPUTE_PGM_RSRC2:TGID_Z_EN: 0
; COMPUTE_PGM_RSRC2:TIDIG_COMP_CNT: 0
; COMPUTE_PGM_RSRC3_GFX90A:ACCUM_OFFSET: 30
; COMPUTE_PGM_RSRC3_GFX90A:TG_SPLIT: 0
	.text
	.protected	_Z8ldsboundiPd          ; -- Begin function _Z8ldsboundiPd
	.globl	_Z8ldsboundiPd
	.p2align	8
	.type	_Z8ldsboundiPd,@function
_Z8ldsboundiPd:                         ; @_Z8ldsboundiPd
; %bb.0:
	s_load_dword s33, s[4:5], 0x0
	s_load_dword s0, s[4:5], 0x1c
	v_lshlrev_b32_e32 v66, 3, v0
	s_movk_i32 s2, 0x1fff
	v_mov_b32_e32 v4, v0
	s_waitcnt lgkmcnt(0)
	v_mul_lo_u32 v1, v0, s33
	s_and_b32 s60, s0, 0xffff
	v_cvt_f64_u32_e32 v[2:3], v1
	s_lshl_b32 s61, s60, 3
	s_mov_b64 s[0:1], 0
	v_mov_b32_e32 v1, v66
.LBB2_1:                                ; =>This Inner Loop Header: Depth=1
	v_add_u32_e32 v4, s60, v4
	v_cmp_lt_u32_e32 vcc, s2, v4
	ds_write_b64 v1, v[2:3]
	s_or_b64 s[0:1], vcc, s[0:1]
	v_add_u32_e32 v1, s61, v1
	s_andn2_b64 exec, exec, s[0:1]
	s_cbranch_execnz .LBB2_1
; %bb.2:
	s_or_b64 exec, exec, s[0:1]
	s_load_dwordx2 s[0:1], s[4:5], 0x8
	v_lshlrev_b32_e32 v1, 3, v0
	s_waitcnt lgkmcnt(0)
	s_barrier
	global_load_dwordx2 v[4:5], v1, s[0:1]
	v_add_co_u32_e32 v2, vcc, s0, v1
	v_mbcnt_lo_u32_b32 v1, -1, 0
	v_mov_b32_e32 v3, s1
	v_mbcnt_hi_u32_b32 v1, -1, v1
	s_mov_b32 s8, 0x55555555
	s_mov_b32 s10, 0x55555555
	s_mov_b32 s12, 0x4222de17
	s_mov_b32 s14, 0xfefa39ef
	s_mov_b32 s16, 0x3b39803f
	s_mov_b32 s18, 0x55555555
	s_mov_b32 s20, 0xd5df274d
	s_mov_b32 s22, 0
	s_mov_b32 s24, 0x652b82fe
	s_mov_b32 s30, 0x6a5dcb37
	v_mov_b32_e32 v33, 0x3f811111
	v_mov_b32_e32 v35, 0x3fa55555
	s_mov_b32 s34, 0
	s_mov_b32 s36, 0
	s_mov_b32 s38, 0
	s_mov_b32 s40, 0
	s_mov_b32 s44, 0x54442d18
	s_mov_b32 s50, 0x6dc9c883
	s_mov_b32 s52, 0x33145c00
	s_mov_b32 s54, 0x252049c0
	s_mov_b32 s56, 0x46cc5e42
	s_mov_b32 s58, 0xf9a43bb8
	v_addc_co_u32_e32 v3, vcc, 0, v3, vcc
	v_and_b32_e32 v67, 64, v1
	s_mov_b64 s[6:7], 0
	s_movk_i32 s62, 0x1fff
	v_mov_b32_e32 v68, 0x3ff00000
	s_brev_b32 s63, -2
	s_mov_b32 s9, 0x3fe55555
	s_mov_b32 s11, 0xbfc55555
	v_mov_b32_e32 v6, 0x968915a9
	v_mov_b32_e32 v7, 0x3fba6564
	s_mov_b32 s13, 0x3fbdee67
	v_mov_b32_e32 v8, 0x3abe935a
	v_mov_b32_e32 v9, 0x3fbe25e4
	;; [unrolled: 1-line block ×14, first 2 shown]
	s_mov_b32 s15, 0x3fe62e42
	s_mov_b32 s17, 0x3c7abc9e
	;; [unrolled: 1-line block ×4, first 2 shown]
	s_movk_i32 s64, 0x204
	s_mov_b32 s23, 0x7ff00000
	s_mov_b32 s25, 0x3ff71547
	;; [unrolled: 1-line block ×6, first 2 shown]
	v_mov_b32_e32 v22, 0xfca7ab0c
	v_mov_b32_e32 v23, 0x3e928af3
	s_mov_b32 s31, 0x3e5ade15
	v_mov_b32_e32 v24, 0x623fde64
	v_mov_b32_e32 v25, 0x3ec71dee
	;; [unrolled: 1-line block ×14, first 2 shown]
	s_mov_b32 s35, 0x40900000
	v_mov_b32_e32 v69, 0x7ff00000
	s_mov_b32 s37, 0xc090cc00
	v_mov_b32_e32 v70, 0x7ff80000
	s_mov_b32 s39, 0x41d00000
	s_mov_b32 s41, 0x7b000000
	s_movk_i32 s65, 0xff80
	s_mov_b32 s43, 0x3ff921fb
	s_mov_b32 s45, 0xbff921fb
	;; [unrolled: 1-line block ×7, first 2 shown]
	v_mov_b32_e32 v40, 0x9037ab78
	v_mov_b32_e32 v41, 0x3e21eeb6
	s_mov_b32 s57, 0xbda907db
	v_mov_b32_e32 v42, 0xa17f65f6
	v_mov_b32_e32 v43, 0xbe927e4f
	;; [unrolled: 1-line block ×10, first 2 shown]
	s_mov_b32 s59, 0x3de5e0b2
	v_mov_b32_e32 v52, 0x796cde01
	v_mov_b32_e32 v53, 0x3ec71de3
	;; [unrolled: 1-line block ×8, first 2 shown]
	s_branch .LBB2_4
.LBB2_3:                                ;   in Loop: Header=BB2_4 Depth=1
	s_or_b64 exec, exec, s[0:1]
	v_mul_f64 v[74:75], v[62:63], v[62:63]
	v_mul_f64 v[76:77], v[74:75], 0.5
	v_fma_f64 v[82:83], s[56:57], v[74:75], v[40:41]
	v_add_f64 v[78:79], -v[76:77], 1.0
	v_fma_f64 v[82:83], v[74:75], v[82:83], v[42:43]
	v_add_f64 v[80:81], -v[78:79], 1.0
	v_fma_f64 v[82:83], v[74:75], v[82:83], v[44:45]
	v_add_f64 v[76:77], v[80:81], -v[76:77]
	v_fma_f64 v[82:83], v[74:75], v[82:83], v[46:47]
	v_mul_f64 v[80:81], v[74:75], v[74:75]
	v_fma_f64 v[82:83], v[74:75], v[82:83], v[48:49]
	v_fma_f64 v[76:77], v[62:63], -v[64:65], v[76:77]
	v_fmac_f64_e32 v[76:77], v[80:81], v[82:83]
	v_add_f64 v[76:77], v[78:79], v[76:77]
	v_fma_f64 v[78:79], s[58:59], v[74:75], v[50:51]
	v_fma_f64 v[78:79], v[74:75], v[78:79], v[52:53]
	;; [unrolled: 1-line block ×4, first 2 shown]
	v_mul_f64 v[80:81], v[62:63], -v[74:75]
	v_mul_f64 v[82:83], v[64:65], 0.5
	v_fmac_f64_e32 v[82:83], v[80:81], v[78:79]
	v_fma_f64 v[64:65], v[74:75], v[82:83], -v[64:65]
	v_fmac_f64_e32 v[64:65], s[10:11], v[80:81]
	v_and_b32_e32 v59, 1, v72
	v_cndmask_b32_e32 v1, v1, v70, vcc
	v_add_f64 v[62:63], v[62:63], -v[64:65]
	v_cmp_eq_u32_e32 vcc, 0, v59
	v_cndmask_b32_e32 v59, v76, v62, vcc
	v_cndmask_b32_e32 v62, v77, v63, vcc
	v_lshlrev_b32_e32 v63, 30, v72
	v_xor_b32_e32 v1, v63, v1
	v_and_b32_e32 v1, 0x80000000, v1
	v_xor_b32_e32 v1, v62, v1
	v_cmp_lg_f64_e32 vcc, s[22:23], v[60:61]
	v_cndmask_b32_e32 v60, 0, v59, vcc
	v_cndmask_b32_e32 v61, v70, v1, vcc
	v_add_u32_e32 v0, s60, v0
	v_add_f64 v[4:5], v[4:5], v[60:61]
	v_cmp_lt_u32_e32 vcc, s62, v0
	s_barrier
	ds_write_b64 v66, v[4:5]
	s_or_b64 s[6:7], vcc, s[6:7]
	v_add_u32_e32 v66, s61, v66
	s_andn2_b64 exec, exec, s[6:7]
	s_cbranch_execz .LBB2_8
.LBB2_4:                                ; =>This Inner Loop Header: Depth=1
	v_and_or_b32 v1, v0, 63, v67
	v_lshlrev_b32_e32 v1, 2, v1
	s_waitcnt vmcnt(0)
	ds_bpermute_b32 v60, v1, v4
	ds_bpermute_b32 v61, v1, v5
	v_add_u32_e32 v1, -1, v0
	v_and_b32_e32 v1, 0x1fff, v1
	v_lshlrev_b32_e32 v1, 3, v1
	ds_read_b64 v[62:63], v1
	ds_read_b64 v[64:65], v66
	s_waitcnt lgkmcnt(1)
	v_mul_f64 v[60:61], v[62:63], v[60:61]
	v_cmp_eq_f64_e32 vcc, 1.0, v[60:61]
	s_waitcnt lgkmcnt(0)
	v_cndmask_b32_e32 v63, v65, v68, vcc
	v_cndmask_b32_e64 v62, v64, 0, vcc
	v_cmp_eq_f64_e64 s[0:1], 0, v[62:63]
	v_and_b32_e32 v1, 0x7fffffff, v61
	v_cndmask_b32_e64 v73, v61, v68, s[0:1]
	v_cndmask_b32_e64 v72, v60, 0, s[0:1]
	v_cndmask_b32_e64 v61, v1, v68, s[0:1]
	v_cndmask_b32_e64 v60, v60, 0, s[0:1]
	v_frexp_mant_f64_e32 v[74:75], v[60:61]
	v_cmp_gt_f64_e64 s[0:1], s[8:9], v[74:75]
	v_cndmask_b32_e64 v59, v68, 2.0, s[0:1]
	v_mul_f64 v[74:75], v[74:75], v[58:59]
	v_add_f64 v[76:77], v[74:75], 1.0
	v_rcp_f64_e32 v[78:79], v[76:77]
	v_add_f64 v[82:83], v[76:77], -1.0
	v_add_f64 v[80:81], v[74:75], -1.0
	v_add_f64 v[74:75], v[74:75], -v[82:83]
	v_fma_f64 v[82:83], -v[76:77], v[78:79], 1.0
	v_fmac_f64_e32 v[78:79], v[82:83], v[78:79]
	v_fma_f64 v[82:83], -v[76:77], v[78:79], 1.0
	v_fmac_f64_e32 v[78:79], v[82:83], v[78:79]
	v_mul_f64 v[82:83], v[80:81], v[78:79]
	v_mul_f64 v[84:85], v[76:77], v[82:83]
	v_fma_f64 v[76:77], v[82:83], v[76:77], -v[84:85]
	v_fmac_f64_e32 v[76:77], v[82:83], v[74:75]
	v_add_f64 v[74:75], v[84:85], v[76:77]
	v_add_f64 v[86:87], v[80:81], -v[74:75]
	v_add_f64 v[84:85], v[74:75], -v[84:85]
	;; [unrolled: 1-line block ×5, first 2 shown]
	v_add_f64 v[74:75], v[76:77], v[74:75]
	v_add_f64 v[74:75], v[86:87], v[74:75]
	v_mul_f64 v[74:75], v[78:79], v[74:75]
	v_add_f64 v[76:77], v[82:83], v[74:75]
	v_add_f64 v[78:79], v[76:77], -v[82:83]
	v_add_f64 v[74:75], v[74:75], -v[78:79]
	v_mul_f64 v[78:79], v[76:77], v[76:77]
	v_fma_f64 v[80:81], v[76:77], v[76:77], -v[78:79]
	v_add_f64 v[82:83], v[74:75], v[74:75]
	v_fmac_f64_e32 v[80:81], v[76:77], v[82:83]
	v_add_f64 v[82:83], v[78:79], v[80:81]
	v_add_f64 v[78:79], v[82:83], -v[78:79]
	v_frexp_exp_i32_f64_e32 v1, v[60:61]
	v_add_f64 v[78:79], v[80:81], -v[78:79]
	v_fma_f64 v[80:81], s[12:13], v[82:83], v[6:7]
	v_subbrev_co_u32_e64 v1, s[0:1], 0, v1, s[0:1]
	v_fma_f64 v[80:81], v[82:83], v[80:81], v[8:9]
	v_fma_f64 v[80:81], v[82:83], v[80:81], v[10:11]
	v_cvt_f64_i32_e32 v[84:85], v1
	v_fma_f64 v[80:81], v[82:83], v[80:81], v[12:13]
	v_mul_f64 v[86:87], v[84:85], s[14:15]
	v_mul_f64 v[92:93], v[76:77], v[82:83]
	v_fma_f64 v[80:81], v[82:83], v[80:81], v[14:15]
	v_fma_f64 v[88:89], v[84:85], s[14:15], -v[86:87]
	v_fma_f64 v[94:95], v[82:83], v[76:77], -v[92:93]
	v_fma_f64 v[80:81], v[82:83], v[80:81], v[16:17]
	v_fmac_f64_e32 v[88:89], s[16:17], v[84:85]
	v_fmac_f64_e32 v[94:95], v[82:83], v[74:75]
	v_fma_f64 v[80:81], v[82:83], v[80:81], v[18:19]
	v_add_f64 v[84:85], v[86:87], v[88:89]
	v_fmac_f64_e32 v[94:95], v[78:79], v[76:77]
	v_fma_f64 v[80:81], v[82:83], v[80:81], v[20:21]
	v_add_f64 v[86:87], v[84:85], -v[86:87]
	v_ldexp_f64 v[90:91], v[74:75], 1
	v_add_f64 v[74:75], v[92:93], v[94:95]
	v_add_f64 v[86:87], v[88:89], -v[86:87]
	v_ldexp_f64 v[88:89], v[76:77], 1
	v_add_f64 v[76:77], v[74:75], -v[92:93]
	v_mul_f64 v[92:93], v[82:83], v[80:81]
	v_fma_f64 v[82:83], v[82:83], v[80:81], -v[92:93]
	v_fmac_f64_e32 v[82:83], v[78:79], v[80:81]
	v_add_f64 v[78:79], v[92:93], v[82:83]
	v_add_f64 v[80:81], v[78:79], -v[92:93]
	v_add_f64 v[80:81], v[82:83], -v[80:81]
	v_add_f64 v[82:83], v[78:79], s[8:9]
	v_add_f64 v[92:93], v[82:83], s[18:19]
	v_add_f64 v[78:79], v[78:79], -v[92:93]
	v_add_f64 v[80:81], v[80:81], s[20:21]
	v_add_f64 v[78:79], v[80:81], v[78:79]
	;; [unrolled: 1-line block ×3, first 2 shown]
	v_add_f64 v[82:83], v[82:83], -v[80:81]
	v_add_f64 v[78:79], v[78:79], v[82:83]
	v_mul_f64 v[82:83], v[74:75], v[80:81]
	v_fma_f64 v[92:93], v[74:75], v[80:81], -v[82:83]
	v_add_f64 v[76:77], v[94:95], -v[76:77]
	v_fmac_f64_e32 v[92:93], v[74:75], v[78:79]
	v_fmac_f64_e32 v[92:93], v[76:77], v[80:81]
	v_add_f64 v[74:75], v[82:83], v[92:93]
	v_add_f64 v[76:77], v[74:75], -v[82:83]
	v_add_f64 v[78:79], v[88:89], v[74:75]
	v_add_f64 v[76:77], v[92:93], -v[76:77]
	v_add_f64 v[80:81], v[78:79], -v[88:89]
	;; [unrolled: 1-line block ×3, first 2 shown]
	v_add_f64 v[76:77], v[90:91], v[76:77]
	v_add_f64 v[74:75], v[76:77], v[74:75]
	;; [unrolled: 1-line block ×3, first 2 shown]
	v_add_f64 v[78:79], v[76:77], -v[78:79]
	v_add_f64 v[74:75], v[74:75], -v[78:79]
	v_add_f64 v[78:79], v[84:85], v[76:77]
	v_add_f64 v[80:81], v[78:79], -v[84:85]
	v_add_f64 v[82:83], v[78:79], -v[80:81]
	;; [unrolled: 1-line block ×4, first 2 shown]
	v_add_f64 v[76:77], v[76:77], v[82:83]
	v_add_f64 v[80:81], v[86:87], v[74:75]
	v_add_f64 v[82:83], v[80:81], -v[86:87]
	v_add_f64 v[76:77], v[80:81], v[76:77]
	v_add_f64 v[84:85], v[80:81], -v[82:83]
	;; [unrolled: 2-line block ×3, first 2 shown]
	v_add_f64 v[74:75], v[74:75], -v[82:83]
	v_add_f64 v[78:79], v[80:81], -v[78:79]
	v_add_f64 v[74:75], v[74:75], v[84:85]
	v_add_f64 v[76:77], v[76:77], -v[78:79]
	v_add_f64 v[74:75], v[74:75], v[76:77]
	v_add_f64 v[76:77], v[80:81], v[74:75]
	v_add_f64 v[78:79], v[76:77], -v[80:81]
	v_add_f64 v[74:75], v[74:75], -v[78:79]
	v_mul_f64 v[78:79], v[62:63], v[76:77]
	v_fma_f64 v[76:77], v[62:63], v[76:77], -v[78:79]
	v_fmac_f64_e32 v[76:77], v[62:63], v[74:75]
	v_add_f64 v[74:75], v[78:79], v[76:77]
	v_cmp_class_f64_e64 s[0:1], v[78:79], s64
	v_add_f64 v[80:81], v[74:75], -v[78:79]
	v_cndmask_b32_e64 v75, v75, v79, s[0:1]
	v_cndmask_b32_e64 v74, v74, v78, s[0:1]
	v_mul_f64 v[78:79], v[74:75], s[24:25]
	v_rndne_f64_e32 v[78:79], v[78:79]
	v_add_f64 v[76:77], v[76:77], -v[80:81]
	v_fma_f64 v[80:81], s[26:27], v[78:79], v[74:75]
	v_fmac_f64_e32 v[80:81], s[28:29], v[78:79]
	v_fma_f64 v[82:83], s[30:31], v[80:81], v[22:23]
	v_fma_f64 v[82:83], v[80:81], v[82:83], v[24:25]
	;; [unrolled: 1-line block ×9, first 2 shown]
	v_fma_f64 v[82:83], v[80:81], v[82:83], 1.0
	v_cmp_neq_f64_e64 s[0:1], |v[74:75]|, s[22:23]
	v_fma_f64 v[80:81], v[80:81], v[82:83], 1.0
	v_cvt_i32_f64_e32 v1, v[78:79]
	v_cndmask_b32_e64 v77, 0, v77, s[0:1]
	v_cndmask_b32_e64 v76, 0, v76, s[0:1]
	v_ldexp_f64 v[78:79], v[80:81], v1
	v_cmp_lt_f64_e64 s[0:1], s[34:35], v[74:75]
	v_cndmask_b32_e64 v1, v78, 0, s[0:1]
	v_cndmask_b32_e64 v59, v79, v69, s[0:1]
	v_cmp_ngt_f64_e64 s[2:3], s[36:37], v[74:75]
	v_and_b32_e32 v79, 0x7fffffff, v79
	v_cndmask_b32_e64 v75, 0, v59, s[2:3]
	v_cndmask_b32_e64 v74, 0, v1, s[2:3]
	v_cmp_eq_f64_e64 s[4:5], s[22:23], v[78:79]
	v_pk_mov_b32 v[80:81], v[74:75], v[74:75] op_sel:[0,1]
	s_or_b64 s[0:1], s[0:1], s[4:5]
	v_fmac_f64_e32 v[80:81], v[80:81], v[76:77]
	s_and_b64 s[0:1], s[2:3], s[0:1]
	v_cndmask_b32_e64 v1, v80, v74, s[0:1]
	v_cndmask_b32_e64 v59, v81, v75, s[0:1]
	v_trunc_f64_e32 v[74:75], v[62:63]
	v_cmp_eq_f64_e64 s[0:1], v[74:75], v[62:63]
	v_mul_f64 v[74:75], v[62:63], 0.5
	v_trunc_f64_e32 v[76:77], v[74:75]
	v_cmp_neq_f64_e64 s[2:3], v[76:77], v[74:75]
	s_and_b64 s[2:3], s[0:1], s[2:3]
	v_cndmask_b32_e64 v74, v68, v73, s[2:3]
	v_bfi_b32 v59, s63, v59, v74
	v_and_b32_e32 v65, 0x7fffffff, v65
	v_cndmask_b32_e64 v74, v70, v59, s[0:1]
	v_cndmask_b32_e64 v75, 0, v1, s[0:1]
	v_cmp_gt_f64_e64 s[0:1], 0, v[72:73]
	v_cndmask_b32_e32 v65, v65, v68, vcc
	v_cndmask_b32_e64 v64, v64, 0, vcc
	v_cndmask_b32_e64 v1, v1, v75, s[0:1]
	v_cndmask_b32_e64 v59, v59, v74, s[0:1]
	v_cmp_neq_f64_e32 vcc, v[62:63], v[64:65]
	v_cmp_gt_f64_e64 s[0:1], 1.0, v[60:61]
	s_xor_b64 s[0:1], vcc, s[0:1]
	v_cndmask_b32_e64 v74, v65, 0, s[0:1]
	v_cndmask_b32_e64 v75, v64, 0, s[0:1]
	v_cmp_eq_f64_e32 vcc, 1.0, v[60:61]
	v_cmp_eq_f64_e64 s[0:1], 0, v[72:73]
	v_cmp_gt_f64_e64 s[4:5], 0, v[62:63]
	v_cndmask_b32_e32 v75, v75, v60, vcc
	v_cndmask_b32_e32 v74, v74, v61, vcc
	v_cmp_eq_f64_e32 vcc, s[22:23], v[64:65]
	s_xor_b64 s[4:5], s[4:5], s[0:1]
	v_cndmask_b32_e32 v59, v59, v74, vcc
	v_cndmask_b32_e32 v1, v1, v75, vcc
	v_cmp_eq_f64_e32 vcc, s[22:23], v[60:61]
	v_cndmask_b32_e64 v60, v69, 0, s[4:5]
	v_cndmask_b32_e64 v61, 0, v73, s[2:3]
	v_bfi_b32 v60, s63, v60, v61
	s_or_b64 vcc, vcc, s[0:1]
	v_cndmask_b32_e64 v64, v1, 0, vcc
	v_cndmask_b32_e32 v1, v59, v60, vcc
	v_and_b32_e32 v59, 0x7fffffff, v1
	v_cmp_u_f64_e32 vcc, v[72:73], v[62:63]
	v_cndmask_b32_e32 v61, v59, v70, vcc
	v_cndmask_b32_e64 v60, v64, 0, vcc
	v_cmp_ngt_f64_e64 s[0:1], s[38:39], v[60:61]
                                        ; implicit-def: $vgpr72
                                        ; implicit-def: $vgpr62_vgpr63
                                        ; implicit-def: $vgpr64_vgpr65
	s_and_saveexec_b64 s[2:3], s[0:1]
	s_xor_b64 s[4:5], exec, s[2:3]
	s_cbranch_execz .LBB2_6
; %bb.5:                                ;   in Loop: Header=BB2_4 Depth=1
	v_ldexp_f64 v[72:73], v[60:61], s65
	v_cmp_le_f64_e64 s[0:1], s[40:41], v[60:61]
	v_trig_preop_f64 v[62:63], v[60:61], 0
	v_cndmask_b32_e64 v73, v61, v73, s[0:1]
	v_cndmask_b32_e64 v72, v60, v72, s[0:1]
	v_trig_preop_f64 v[64:65], v[60:61], 1
	v_mul_f64 v[76:77], v[62:63], v[72:73]
	v_mul_f64 v[74:75], v[64:65], v[72:73]
	v_fma_f64 v[62:63], v[62:63], v[72:73], -v[76:77]
	v_add_f64 v[78:79], v[74:75], v[62:63]
	v_add_f64 v[80:81], v[76:77], v[78:79]
	v_ldexp_f64 v[82:83], v[80:81], -2
	v_fract_f64_e32 v[84:85], v[82:83]
	v_cmp_neq_f64_e64 s[0:1], |v[82:83]|, s[22:23]
	v_cndmask_b32_e64 v83, 0, v85, s[0:1]
	v_cndmask_b32_e64 v82, 0, v84, s[0:1]
	v_add_f64 v[84:85], v[78:79], -v[74:75]
	v_add_f64 v[62:63], v[62:63], -v[84:85]
	;; [unrolled: 1-line block ×4, first 2 shown]
	v_fma_f64 v[64:65], v[64:65], v[72:73], -v[74:75]
	v_trig_preop_f64 v[74:75], v[60:61], 2
	v_add_f64 v[62:63], v[62:63], v[84:85]
	v_mul_f64 v[84:85], v[74:75], v[72:73]
	v_add_f64 v[86:87], v[84:85], v[64:65]
	v_add_f64 v[88:89], v[86:87], v[62:63]
	v_add_f64 v[76:77], v[80:81], -v[76:77]
	v_add_f64 v[80:81], v[88:89], -v[86:87]
	;; [unrolled: 1-line block ×5, first 2 shown]
	v_add_f64 v[62:63], v[62:63], v[80:81]
	v_add_f64 v[80:81], v[86:87], -v[84:85]
	v_add_f64 v[64:65], v[64:65], -v[80:81]
	;; [unrolled: 1-line block ×4, first 2 shown]
	v_add_f64 v[64:65], v[64:65], v[80:81]
	v_add_f64 v[76:77], v[78:79], -v[76:77]
	v_add_f64 v[62:63], v[64:65], v[62:63]
	v_fma_f64 v[64:65], v[74:75], v[72:73], -v[84:85]
	v_add_f64 v[78:79], v[76:77], v[88:89]
	v_add_f64 v[62:63], v[64:65], v[62:63]
	v_ldexp_f64 v[64:65], v[82:83], 2
	v_add_f64 v[72:73], v[78:79], v[64:65]
	v_cmp_gt_f64_e64 s[0:1], 0, v[72:73]
	v_cndmask_b32_e64 v59, 0, v71, s[0:1]
	v_add_f64 v[64:65], v[64:65], v[58:59]
	v_add_f64 v[72:73], v[78:79], v[64:65]
	v_cvt_i32_f64_e32 v59, v[72:73]
	v_cvt_f64_i32_e32 v[72:73], v59
	v_add_f64 v[64:65], v[64:65], -v[72:73]
	v_add_f64 v[76:77], v[78:79], -v[76:77]
	v_add_f64 v[74:75], v[78:79], v[64:65]
	v_add_f64 v[76:77], v[88:89], -v[76:77]
	v_add_f64 v[64:65], v[74:75], -v[64:65]
	v_cmp_le_f64_e64 s[0:1], 0.5, v[74:75]
	v_add_f64 v[62:63], v[76:77], v[62:63]
	v_add_f64 v[64:65], v[78:79], -v[64:65]
	v_addc_co_u32_e64 v72, s[2:3], 0, v59, s[0:1]
	v_cndmask_b32_e64 v59, 0, v68, s[0:1]
	v_add_f64 v[62:63], v[62:63], v[64:65]
	v_add_f64 v[64:65], v[74:75], -v[58:59]
	v_add_f64 v[74:75], v[64:65], v[62:63]
	v_add_f64 v[64:65], v[74:75], -v[64:65]
	s_mov_b32 s42, s44
	v_add_f64 v[62:63], v[62:63], -v[64:65]
	v_mul_f64 v[64:65], v[74:75], s[42:43]
	v_fma_f64 v[76:77], v[74:75], s[42:43], -v[64:65]
	s_mov_b32 s49, s47
	v_fmac_f64_e32 v[76:77], s[48:49], v[74:75]
	v_fmac_f64_e32 v[76:77], s[42:43], v[62:63]
	v_add_f64 v[62:63], v[64:65], v[76:77]
	v_add_f64 v[64:65], v[62:63], -v[64:65]
	v_add_f64 v[64:65], v[76:77], -v[64:65]
.LBB2_6:                                ;   in Loop: Header=BB2_4 Depth=1
	s_andn2_saveexec_b64 s[0:1], s[4:5]
	s_cbranch_execz .LBB2_3
; %bb.7:                                ;   in Loop: Header=BB2_4 Depth=1
	v_mul_f64 v[62:63], v[60:61], s[50:51]
	v_rndne_f64_e32 v[72:73], v[62:63]
	v_fma_f64 v[62:63], s[44:45], v[72:73], v[60:61]
	v_mul_f64 v[74:75], v[72:73], s[52:53]
	v_add_f64 v[78:79], v[62:63], v[74:75]
	v_fma_f64 v[64:65], s[52:53], v[72:73], v[62:63]
	s_mov_b32 s46, s52
	v_add_f64 v[62:63], v[62:63], -v[78:79]
	v_fma_f64 v[76:77], s[46:47], v[72:73], v[74:75]
	v_add_f64 v[62:63], v[62:63], v[74:75]
	v_add_f64 v[74:75], v[78:79], -v[64:65]
	v_add_f64 v[62:63], v[74:75], v[62:63]
	v_add_f64 v[74:75], v[62:63], -v[76:77]
	v_fmac_f64_e32 v[74:75], s[54:55], v[72:73]
	v_add_f64 v[62:63], v[64:65], v[74:75]
	v_add_f64 v[64:65], v[62:63], -v[64:65]
	v_add_f64 v[64:65], v[74:75], -v[64:65]
	v_cvt_i32_f64_e32 v72, v[72:73]
	s_branch .LBB2_3
.LBB2_8:
	s_or_b64 exec, exec, s[6:7]
	v_cvt_f64_i32_e32 v[0:1], s33
	v_cmp_eq_f64_e32 vcc, v[4:5], v[0:1]
	s_and_saveexec_b64 s[0:1], vcc
	s_cbranch_execz .LBB2_10
; %bb.9:
	global_store_dwordx2 v[2:3], v[4:5], off
.LBB2_10:
	s_endpgm
	.section	.rodata,"a",@progbits
	.p2align	6, 0x0
	.amdhsa_kernel _Z8ldsboundiPd
		.amdhsa_group_segment_fixed_size 65536
		.amdhsa_private_segment_fixed_size 0
		.amdhsa_kernarg_size 272
		.amdhsa_user_sgpr_count 6
		.amdhsa_user_sgpr_private_segment_buffer 1
		.amdhsa_user_sgpr_dispatch_ptr 0
		.amdhsa_user_sgpr_queue_ptr 0
		.amdhsa_user_sgpr_kernarg_segment_ptr 1
		.amdhsa_user_sgpr_dispatch_id 0
		.amdhsa_user_sgpr_flat_scratch_init 0
		.amdhsa_user_sgpr_kernarg_preload_length 0
		.amdhsa_user_sgpr_kernarg_preload_offset 0
		.amdhsa_user_sgpr_private_segment_size 0
		.amdhsa_uses_dynamic_stack 0
		.amdhsa_system_sgpr_private_segment_wavefront_offset 0
		.amdhsa_system_sgpr_workgroup_id_x 1
		.amdhsa_system_sgpr_workgroup_id_y 0
		.amdhsa_system_sgpr_workgroup_id_z 0
		.amdhsa_system_sgpr_workgroup_info 0
		.amdhsa_system_vgpr_workitem_id 0
		.amdhsa_next_free_vgpr 96
		.amdhsa_next_free_sgpr 66
		.amdhsa_accum_offset 96
		.amdhsa_reserve_vcc 1
		.amdhsa_reserve_flat_scratch 0
		.amdhsa_float_round_mode_32 0
		.amdhsa_float_round_mode_16_64 0
		.amdhsa_float_denorm_mode_32 3
		.amdhsa_float_denorm_mode_16_64 3
		.amdhsa_dx10_clamp 1
		.amdhsa_ieee_mode 1
		.amdhsa_fp16_overflow 0
		.amdhsa_tg_split 0
		.amdhsa_exception_fp_ieee_invalid_op 0
		.amdhsa_exception_fp_denorm_src 0
		.amdhsa_exception_fp_ieee_div_zero 0
		.amdhsa_exception_fp_ieee_overflow 0
		.amdhsa_exception_fp_ieee_underflow 0
		.amdhsa_exception_fp_ieee_inexact 0
		.amdhsa_exception_int_div_zero 0
	.end_amdhsa_kernel
	.text
.Lfunc_end2:
	.size	_Z8ldsboundiPd, .Lfunc_end2-_Z8ldsboundiPd
                                        ; -- End function
	.section	.AMDGPU.csdata,"",@progbits
; Kernel info:
; codeLenInByte = 3556
; NumSgprs: 70
; NumVgprs: 96
; NumAgprs: 0
; TotalNumVgprs: 96
; ScratchSize: 0
; MemoryBound: 0
; FloatMode: 240
; IeeeMode: 1
; LDSByteSize: 65536 bytes/workgroup (compile time only)
; SGPRBlocks: 8
; VGPRBlocks: 11
; NumSGPRsForWavesPerEU: 70
; NumVGPRsForWavesPerEU: 96
; AccumOffset: 96
; Occupancy: 1
; WaveLimiterHint : 0
; COMPUTE_PGM_RSRC2:SCRATCH_EN: 0
; COMPUTE_PGM_RSRC2:USER_SGPR: 6
; COMPUTE_PGM_RSRC2:TRAP_HANDLER: 0
; COMPUTE_PGM_RSRC2:TGID_X_EN: 1
; COMPUTE_PGM_RSRC2:TGID_Y_EN: 0
; COMPUTE_PGM_RSRC2:TGID_Z_EN: 0
; COMPUTE_PGM_RSRC2:TIDIG_COMP_CNT: 0
; COMPUTE_PGM_RSRC3_GFX90A:ACCUM_OFFSET: 23
; COMPUTE_PGM_RSRC3_GFX90A:TG_SPLIT: 0
	.text
	.protected	_Z9sgprboundiPd         ; -- Begin function _Z9sgprboundiPd
	.globl	_Z9sgprboundiPd
	.p2align	8
	.type	_Z9sgprboundiPd,@function
_Z9sgprboundiPd:                        ; @_Z9sgprboundiPd
; %bb.0:
	s_mov_b64 s[74:75], s[2:3]
                                        ; implicit-def: $vgpr63 : SGPR spill to VGPR lane
	s_mov_b64 s[72:73], s[0:1]
	v_writelane_b32 v63, s4, 0
	s_load_dwordx2 s[0:1], s[4:5], 0x8
	s_add_u32 s72, s72, s7
	s_addc_u32 s73, s73, 0
	v_writelane_b32 v63, s5, 1
	v_mov_b32_e32 v0, 0x968915a9
	v_mov_b32_e32 v1, 0x3fba6564
	s_waitcnt lgkmcnt(0)
	v_writelane_b32 v63, s0, 2
	s_load_dwordx2 s[8:9], s[0:1], 0x0
	buffer_store_dword v0, off, s[72:75], 0 ; 4-byte Folded Spill
	s_nop 0
	buffer_store_dword v1, off, s[72:75], 0 offset:4 ; 4-byte Folded Spill
	v_mov_b32_e32 v0, 0x3abe935a
	v_mov_b32_e32 v1, 0x3fbe25e4
	buffer_store_dword v0, off, s[72:75], 0 offset:8 ; 4-byte Folded Spill
	s_nop 0
	buffer_store_dword v1, off, s[72:75], 0 offset:12 ; 4-byte Folded Spill
	v_mov_b32_e32 v0, 0x47e6c9c2
	v_mov_b32_e32 v1, 0x3fc110ef
	buffer_store_dword v0, off, s[72:75], 0 offset:16 ; 4-byte Folded Spill
	;; [unrolled: 5-line block ×7, first 2 shown]
	s_nop 0
	buffer_store_dword v1, off, s[72:75], 0 offset:60 ; 4-byte Folded Spill
	s_mov_b32 s26, 0
	v_mov_b32_e32 v0, 0xfca7ab0c
	v_mov_b32_e32 v1, 0x3e928af3
	s_mov_b32 s12, 0x55555555
	s_mov_b32 s14, 0x55555555
	;; [unrolled: 1-line block ×9, first 2 shown]
	buffer_store_dword v0, off, s[72:75], 0 offset:64 ; 4-byte Folded Spill
	s_nop 0
	buffer_store_dword v1, off, s[72:75], 0 offset:68 ; 4-byte Folded Spill
	s_mov_b32 s36, 0x6a5dcb37
	v_mov_b32_e32 v29, 0x3f811111
	v_mov_b32_e32 v33, 0x3fa55555
	s_mov_b32 s38, 0
	s_mov_b32 s40, 0
	s_mov_b32 s42, 0
	s_mov_b32 s48, 0x54442d18
	s_mov_b32 s54, 0x6dc9c883
	s_mov_b32 s56, 0x33145c00
	s_mov_b32 s58, 0x252049c0
	s_mov_b32 s60, 0x46cc5e42
	s_mov_b32 s62, 0xf9a43bb8
	s_mov_b64 s[64:65], 0
	s_movk_i32 s33, 0x64
	s_mov_b32 s10, 0
	s_brev_b32 s70, -2
	v_writelane_b32 v63, s1, 3
	s_mov_b32 s13, 0x3fe55555
	s_mov_b32 s15, 0xbfc55555
	s_mov_b32 s17, 0x3fbdee67
	s_mov_b32 s19, 0x3fe62e42
	s_mov_b32 s21, 0x3c7abc9e
	s_mov_b32 s23, 0xbfe55555
	s_mov_b32 s25, 0x3c8543b0
	s_movk_i32 s71, 0x204
	s_mov_b32 s29, 0x3ff71547
	s_mov_b32 s31, 0xbfe62e42
	;; [unrolled: 1-line block ×6, first 2 shown]
	v_mov_b32_e32 v0, 0x623fde64
	v_mov_b32_e32 v1, 0x3ec71dee
	v_mov_b32_e32 v20, 0x7c89e6b0
	v_mov_b32_e32 v21, 0x3efa0199
	v_mov_b32_e32 v22, 0x14761f6e
	v_mov_b32_e32 v23, 0x3f2a01a0
	v_mov_b32_e32 v24, 0x1852b7b0
	v_mov_b32_e32 v25, 0x3f56c16c
	v_mov_b32_e32 v26, 0x11122322
	v_mov_b32_e32 v27, v29
	v_mov_b32_e32 v30, 0x555502a1
	v_mov_b32_e32 v31, v33
	v_mov_b32_e32 v34, 0x55555511
	v_mov_b32_e32 v35, 0x3fc55555
	v_mov_b32_e32 v36, 11
	v_mov_b32_e32 v37, 0x3fe00000
	s_mov_b32 s39, 0x40900000
	v_mov_b32_e32 v62, 0x7ff00000
	s_mov_b32 s41, 0xc090cc00
	v_mov_b32_e32 v6, 0x7ff80000
	v_pk_mov_b32 v[38:39], s[26:27], s[26:27] op_sel:[0,1]
	s_mov_b32 s43, 0x41d00000
	s_movk_i32 s6, 0xff80
	s_mov_b32 s47, 0x3ff921fb
	s_mov_b32 s49, 0xbff921fb
	;; [unrolled: 1-line block ×9, first 2 shown]
	v_mov_b32_e32 v40, 0x9037ab78
	v_mov_b32_e32 v41, 0x3e21eeb6
	;; [unrolled: 1-line block ×16, first 2 shown]
	buffer_store_dword v0, off, s[72:75], 0 offset:72 ; 4-byte Folded Spill
	s_nop 0
	buffer_store_dword v1, off, s[72:75], 0 offset:76 ; 4-byte Folded Spill
.LBB3_1:                                ; =>This Inner Loop Header: Depth=1
	v_cmp_eq_f64_e64 s[0:1], s[64:65], 0
	s_and_b64 s[2:3], s[0:1], exec
	s_cselect_b32 s67, 0x3ff00000, s65
	s_cselect_b32 s66, 0, s64
	s_and_b32 s7, s65, 0x7fffffff
	s_and_b64 s[0:1], s[0:1], exec
	s_cselect_b32 s69, 0x3ff00000, s7
	s_cselect_b32 s68, 0, s64
	v_frexp_mant_f64_e32 v[0:1], s[68:69]
	v_cmp_gt_f64_e32 vcc, s[12:13], v[0:1]
	s_and_b64 s[0:1], vcc, exec
	s_cselect_b32 s11, 2.0, 0x3ff00000
	v_mul_f64 v[0:1], v[0:1], s[10:11]
	v_add_f64 v[2:3], v[0:1], 1.0
	v_rcp_f64_e32 v[4:5], v[2:3]
	v_add_f64 v[56:57], v[2:3], -1.0
	v_add_f64 v[54:55], v[0:1], -1.0
	v_add_f64 v[0:1], v[0:1], -v[56:57]
	v_fma_f64 v[56:57], -v[2:3], v[4:5], 1.0
	v_fmac_f64_e32 v[4:5], v[56:57], v[4:5]
	v_fma_f64 v[56:57], -v[2:3], v[4:5], 1.0
	v_fmac_f64_e32 v[4:5], v[56:57], v[4:5]
	v_mul_f64 v[56:57], v[54:55], v[4:5]
	v_mul_f64 v[58:59], v[2:3], v[56:57]
	v_fma_f64 v[2:3], v[56:57], v[2:3], -v[58:59]
	v_fmac_f64_e32 v[2:3], v[56:57], v[0:1]
	v_add_f64 v[0:1], v[58:59], v[2:3]
	v_add_f64 v[60:61], v[54:55], -v[0:1]
	v_add_f64 v[58:59], v[0:1], -v[58:59]
	;; [unrolled: 1-line block ×5, first 2 shown]
	v_add_f64 v[0:1], v[2:3], v[0:1]
	v_add_f64 v[0:1], v[60:61], v[0:1]
	v_mul_f64 v[0:1], v[4:5], v[0:1]
	v_add_f64 v[54:55], v[56:57], v[0:1]
	v_add_f64 v[2:3], v[54:55], -v[56:57]
	v_add_f64 v[56:57], v[0:1], -v[2:3]
	v_mul_f64 v[0:1], v[54:55], v[54:55]
	v_fma_f64 v[2:3], v[54:55], v[54:55], -v[0:1]
	v_add_f64 v[4:5], v[56:57], v[56:57]
	v_fmac_f64_e32 v[2:3], v[54:55], v[4:5]
	v_add_f64 v[4:5], v[0:1], v[2:3]
	v_add_f64 v[0:1], v[4:5], -v[0:1]
	v_add_f64 v[0:1], v[2:3], -v[0:1]
	buffer_load_dword v2, off, s[72:75], 0  ; 4-byte Folded Reload
	buffer_load_dword v3, off, s[72:75], 0 offset:4 ; 4-byte Folded Reload
	buffer_load_dword v8, off, s[72:75], 0 offset:8 ; 4-byte Folded Reload
	;; [unrolled: 1-line block ×3, first 2 shown]
	v_frexp_exp_i32_f64_e32 v7, s[68:69]
	v_subbrev_co_u32_e32 v7, vcc, 0, v7, vcc
	v_cmp_eq_f64_e64 s[44:45], s[68:69], 1.0
	s_waitcnt vmcnt(2)
	v_fma_f64 v[2:3], s[16:17], v[4:5], v[2:3]
	s_waitcnt vmcnt(0)
	v_fma_f64 v[2:3], v[4:5], v[2:3], v[8:9]
	buffer_load_dword v8, off, s[72:75], 0 offset:16 ; 4-byte Folded Reload
	buffer_load_dword v9, off, s[72:75], 0 offset:20 ; 4-byte Folded Reload
	s_waitcnt vmcnt(0)
	v_fma_f64 v[2:3], v[4:5], v[2:3], v[8:9]
	buffer_load_dword v8, off, s[72:75], 0 offset:24 ; 4-byte Folded Reload
	buffer_load_dword v9, off, s[72:75], 0 offset:28 ; 4-byte Folded Reload
	;; [unrolled: 4-line block ×6, first 2 shown]
	s_waitcnt vmcnt(0)
	v_fma_f64 v[2:3], v[4:5], v[2:3], v[8:9]
	v_mul_f64 v[8:9], v[54:55], v[4:5]
	v_fma_f64 v[58:59], v[4:5], v[54:55], -v[8:9]
	v_mul_f64 v[60:61], v[4:5], v[2:3]
	v_fmac_f64_e32 v[58:59], v[4:5], v[56:57]
	v_fma_f64 v[4:5], v[4:5], v[2:3], -v[60:61]
	v_fmac_f64_e32 v[4:5], v[0:1], v[2:3]
	v_fmac_f64_e32 v[58:59], v[0:1], v[54:55]
	v_add_f64 v[0:1], v[60:61], v[4:5]
	v_add_f64 v[2:3], v[0:1], -v[60:61]
	v_add_f64 v[2:3], v[4:5], -v[2:3]
	v_add_f64 v[4:5], v[0:1], s[12:13]
	v_add_f64 v[60:61], v[4:5], s[22:23]
	v_add_f64 v[0:1], v[0:1], -v[60:61]
	v_add_f64 v[2:3], v[2:3], s[24:25]
	v_add_f64 v[0:1], v[2:3], v[0:1]
	;; [unrolled: 1-line block ×4, first 2 shown]
	v_add_f64 v[4:5], v[4:5], -v[2:3]
	v_mul_f64 v[60:61], v[10:11], v[2:3]
	v_add_f64 v[4:5], v[0:1], v[4:5]
	v_fma_f64 v[0:1], v[10:11], v[2:3], -v[60:61]
	v_fmac_f64_e32 v[0:1], v[10:11], v[4:5]
	v_add_f64 v[4:5], v[10:11], -v[8:9]
	v_add_f64 v[4:5], v[58:59], -v[4:5]
	v_cvt_f64_i32_e32 v[8:9], v7
	v_fmac_f64_e32 v[0:1], v[4:5], v[2:3]
	v_mul_f64 v[2:3], v[8:9], s[18:19]
	v_fma_f64 v[4:5], v[8:9], s[18:19], -v[2:3]
	v_fmac_f64_e32 v[4:5], s[20:21], v[8:9]
	v_add_f64 v[8:9], v[2:3], v[4:5]
	v_add_f64 v[2:3], v[8:9], -v[2:3]
	v_add_f64 v[2:3], v[4:5], -v[2:3]
	v_ldexp_f64 v[4:5], v[54:55], 1
	v_add_f64 v[54:55], v[60:61], v[0:1]
	v_ldexp_f64 v[10:11], v[56:57], 1
	v_add_f64 v[56:57], v[54:55], -v[60:61]
	v_add_f64 v[0:1], v[0:1], -v[56:57]
	v_add_f64 v[56:57], v[4:5], v[54:55]
	v_add_f64 v[4:5], v[56:57], -v[4:5]
	v_add_f64 v[4:5], v[54:55], -v[4:5]
	v_add_f64 v[0:1], v[10:11], v[0:1]
	v_add_f64 v[0:1], v[0:1], v[4:5]
	;; [unrolled: 1-line block ×3, first 2 shown]
	v_add_f64 v[10:11], v[4:5], -v[56:57]
	v_add_f64 v[0:1], v[0:1], -v[10:11]
	v_add_f64 v[10:11], v[8:9], v[4:5]
	v_add_f64 v[54:55], v[10:11], -v[8:9]
	v_add_f64 v[56:57], v[10:11], -v[54:55]
	;; [unrolled: 1-line block ×4, first 2 shown]
	v_add_f64 v[4:5], v[4:5], v[8:9]
	v_add_f64 v[8:9], v[2:3], v[0:1]
	v_add_f64 v[54:55], v[8:9], -v[2:3]
	v_add_f64 v[56:57], v[8:9], -v[54:55]
	;; [unrolled: 1-line block ×4, first 2 shown]
	v_add_f64 v[0:1], v[0:1], v[2:3]
	v_add_f64 v[2:3], v[8:9], v[4:5]
	;; [unrolled: 1-line block ×3, first 2 shown]
	v_add_f64 v[8:9], v[4:5], -v[10:11]
	buffer_load_dword v10, off, s[72:75], 0 offset:64 ; 4-byte Folded Reload
	buffer_load_dword v11, off, s[72:75], 0 offset:68 ; 4-byte Folded Reload
	;; [unrolled: 1-line block ×4, first 2 shown]
	v_add_f64 v[2:3], v[2:3], -v[8:9]
	v_add_f64 v[0:1], v[0:1], v[2:3]
	v_add_f64 v[2:3], v[4:5], v[0:1]
	v_add_f64 v[4:5], v[2:3], -v[4:5]
	v_add_f64 v[0:1], v[0:1], -v[4:5]
	v_mul_f64 v[4:5], s[64:65], v[2:3]
	v_fma_f64 v[2:3], s[64:65], v[2:3], -v[4:5]
	v_fmac_f64_e32 v[2:3], s[64:65], v[0:1]
	v_add_f64 v[0:1], v[4:5], v[2:3]
	v_cmp_class_f64_e64 vcc, v[4:5], s71
	v_add_f64 v[8:9], v[0:1], -v[4:5]
	v_cndmask_b32_e32 v1, v1, v5, vcc
	v_cndmask_b32_e32 v0, v0, v4, vcc
	v_mul_f64 v[4:5], v[0:1], s[28:29]
	v_rndne_f64_e32 v[4:5], v[4:5]
	v_add_f64 v[2:3], v[2:3], -v[8:9]
	v_fma_f64 v[8:9], s[30:31], v[4:5], v[0:1]
	v_fmac_f64_e32 v[8:9], s[34:35], v[4:5]
	v_cmp_neq_f64_e64 vcc, |v[0:1]|, s[26:27]
	v_cvt_i32_f64_e32 v4, v[4:5]
	v_cndmask_b32_e32 v3, 0, v3, vcc
	v_cndmask_b32_e32 v2, 0, v2, vcc
	v_cmp_lt_f64_e32 vcc, s[38:39], v[0:1]
	v_cmp_ngt_f64_e64 s[0:1], s[40:41], v[0:1]
	s_waitcnt vmcnt(2)
	v_fma_f64 v[10:11], s[36:37], v[8:9], v[10:11]
	s_waitcnt vmcnt(0)
	v_fma_f64 v[10:11], v[8:9], v[10:11], v[12:13]
	v_fma_f64 v[10:11], v[8:9], v[10:11], v[20:21]
	v_fma_f64 v[10:11], v[8:9], v[10:11], v[22:23]
	v_fma_f64 v[10:11], v[8:9], v[10:11], v[24:25]
	v_fma_f64 v[10:11], v[8:9], v[10:11], v[26:27]
	v_fma_f64 v[10:11], v[8:9], v[10:11], v[30:31]
	v_fma_f64 v[10:11], v[8:9], v[10:11], v[34:35]
	v_fma_f64 v[10:11], v[8:9], v[10:11], v[36:37]
	v_fma_f64 v[10:11], v[8:9], v[10:11], 1.0
	v_fma_f64 v[8:9], v[8:9], v[10:11], 1.0
	v_ldexp_f64 v[4:5], v[8:9], v4
	v_cndmask_b32_e64 v7, v4, 0, vcc
	v_cndmask_b32_e32 v8, v5, v62, vcc
	v_and_b32_e32 v5, 0x7fffffff, v5
	v_cndmask_b32_e64 v1, 0, v8, s[0:1]
	v_cndmask_b32_e64 v0, 0, v7, s[0:1]
	v_cmp_eq_f64_e64 s[2:3], s[26:27], v[4:5]
	v_pk_mov_b32 v[8:9], v[0:1], v[0:1] op_sel:[0,1]
	s_or_b64 s[2:3], vcc, s[2:3]
	v_fmac_f64_e32 v[8:9], v[8:9], v[2:3]
	s_and_b64 vcc, s[0:1], s[2:3]
	v_mul_f64 v[2:3], s[64:65], 0.5
	v_cndmask_b32_e32 v7, v8, v0, vcc
	v_cndmask_b32_e32 v8, v9, v1, vcc
	v_trunc_f64_e32 v[0:1], s[64:65]
	v_trunc_f64_e32 v[4:5], v[2:3]
	v_cmp_neq_f64_e32 vcc, v[4:5], v[2:3]
	v_cmp_eq_f64_e64 s[0:1], s[64:65], v[0:1]
	s_and_b64 s[2:3], s[0:1], vcc
	s_and_b64 vcc, s[2:3], exec
	s_cselect_b32 s4, s67, 0x3ff00000
	v_mov_b32_e32 v0, s4
	v_bfi_b32 v0, s70, v8, v0
	v_cndmask_b32_e64 v1, v6, v0, s[0:1]
	v_cndmask_b32_e64 v2, 0, v7, s[0:1]
	v_cmp_neq_f64_e64 s[0:1], s[64:65], 1.0
	s_and_b64 s[0:1], s[0:1], exec
	v_cmp_lt_f64_e64 vcc, s[66:67], 0
	s_cselect_b32 s1, s7, 0x3ff00000
	s_cselect_b32 s0, s64, 0
	v_cndmask_b32_e32 v3, v0, v1, vcc
	v_pk_mov_b32 v[0:1], s[0:1], s[0:1] op_sel:[0,1]
	v_cndmask_b32_e32 v2, v7, v2, vcc
	v_cmp_neq_f64_e32 vcc, s[64:65], v[0:1]
	v_cmp_lt_f64_e64 s[4:5], s[68:69], 1.0
	s_xor_b64 s[4:5], vcc, s[4:5]
	s_and_b64 s[4:5], s[4:5], exec
	s_cselect_b32 s7, 0, s1
	s_cselect_b32 s11, 0, s0
	s_and_b64 s[4:5], s[44:45], exec
	v_cmp_eq_f64_e32 vcc, s[0:1], v[38:39]
	v_cmp_lt_f64_e64 s[0:1], s[64:65], 0
	s_cselect_b32 s4, s68, s11
	s_cselect_b32 s5, s69, s7
	s_and_b64 s[0:1], s[0:1], exec
	v_mov_b32_e32 v1, s4
	s_cselect_b32 s4, 0, 0x7ff00000
	s_and_b64 s[0:1], s[2:3], exec
	v_mov_b32_e32 v0, s5
	s_cselect_b32 s0, s67, 0
	v_cndmask_b32_e32 v0, v3, v0, vcc
	v_cndmask_b32_e32 v1, v2, v1, vcc
	v_mov_b32_e32 v2, s4
	v_mov_b32_e32 v3, s0
	v_bfi_b32 v2, s70, v2, v3
	v_cmp_eq_f64_e32 vcc, s[68:69], v[38:39]
	v_cndmask_b32_e64 v3, v1, 0, vcc
	v_cndmask_b32_e32 v4, v0, v2, vcc
	v_pk_mov_b32 v[0:1], s[64:65], s[64:65] op_sel:[0,1]
	v_and_b32_e32 v2, 0x7fffffff, v4
	v_cmp_u_f64_e64 s[0:1], s[66:67], v[0:1]
	v_cndmask_b32_e64 v55, v2, v6, s[0:1]
	v_cndmask_b32_e64 v54, v3, 0, s[0:1]
	v_cmp_ngt_f64_e32 vcc, s[42:43], v[54:55]
	s_cbranch_vccz .LBB3_3
; %bb.2:                                ;   in Loop: Header=BB3_1 Depth=1
	s_mov_b32 s2, 0
	s_mov_b32 s3, 0x7b000000
	v_ldexp_f64 v[8:9], v[54:55], s6
	v_cmp_le_f64_e32 vcc, s[2:3], v[54:55]
	v_trig_preop_f64 v[0:1], v[54:55], 0
	v_cndmask_b32_e32 v9, v55, v9, vcc
	v_cndmask_b32_e32 v8, v54, v8, vcc
	v_trig_preop_f64 v[2:3], v[54:55], 1
	v_mul_f64 v[56:57], v[0:1], v[8:9]
	v_mul_f64 v[10:11], v[2:3], v[8:9]
	v_fma_f64 v[0:1], v[0:1], v[8:9], -v[56:57]
	v_add_f64 v[58:59], v[10:11], v[0:1]
	v_add_f64 v[60:61], v[56:57], v[58:59]
	v_ldexp_f64 v[12:13], v[60:61], -2
	v_fract_f64_e32 v[14:15], v[12:13]
	v_cmp_neq_f64_e64 vcc, |v[12:13]|, s[26:27]
	v_cndmask_b32_e32 v13, 0, v15, vcc
	v_cndmask_b32_e32 v12, 0, v14, vcc
	v_add_f64 v[14:15], v[58:59], -v[10:11]
	v_add_f64 v[0:1], v[0:1], -v[14:15]
	;; [unrolled: 1-line block ×4, first 2 shown]
	v_fma_f64 v[2:3], v[2:3], v[8:9], -v[10:11]
	v_trig_preop_f64 v[10:11], v[54:55], 2
	v_add_f64 v[0:1], v[0:1], v[14:15]
	v_mul_f64 v[14:15], v[10:11], v[8:9]
	v_add_f64 v[16:17], v[14:15], v[2:3]
	v_add_f64 v[56:57], v[60:61], -v[56:57]
	v_add_f64 v[18:19], v[16:17], v[0:1]
	v_add_f64 v[56:57], v[58:59], -v[56:57]
	;; [unrolled: 2-line block ×3, first 2 shown]
	v_add_f64 v[60:61], v[18:19], -v[16:17]
	v_add_f64 v[56:57], v[18:19], -v[56:57]
	;; [unrolled: 1-line block ×5, first 2 shown]
	v_add_f64 v[0:1], v[0:1], v[18:19]
	v_add_f64 v[18:19], v[16:17], -v[14:15]
	v_add_f64 v[16:17], v[16:17], -v[18:19]
	;; [unrolled: 1-line block ×4, first 2 shown]
	v_add_f64 v[2:3], v[2:3], v[16:17]
	v_add_f64 v[0:1], v[2:3], v[0:1]
	v_fma_f64 v[2:3], v[10:11], v[8:9], -v[14:15]
	v_add_f64 v[0:1], v[2:3], v[0:1]
	v_ldexp_f64 v[2:3], v[12:13], 2
	v_add_f64 v[8:9], v[58:59], v[2:3]
	v_cmp_gt_f64_e32 vcc, 0, v[8:9]
	s_and_b64 s[2:3], vcc, exec
	s_cselect_b32 s11, 0x40100000, 0
	v_add_f64 v[2:3], v[2:3], s[10:11]
	v_add_f64 v[8:9], v[58:59], v[2:3]
	v_cvt_i32_f64_e32 v5, v[8:9]
	v_cvt_f64_i32_e32 v[8:9], v5
	v_add_f64 v[2:3], v[2:3], -v[8:9]
	v_add_f64 v[8:9], v[58:59], v[2:3]
	v_cmp_le_f64_e32 vcc, 0.5, v[8:9]
	v_add_f64 v[2:3], v[8:9], -v[2:3]
	s_and_b64 s[2:3], vcc, exec
	v_add_f64 v[0:1], v[56:57], v[0:1]
	v_add_f64 v[2:3], v[58:59], -v[2:3]
	s_cselect_b32 s11, 0x3ff00000, 0
	v_add_f64 v[0:1], v[0:1], v[2:3]
	v_add_f64 v[2:3], v[8:9], -s[10:11]
	v_add_f64 v[8:9], v[2:3], v[0:1]
	v_add_f64 v[2:3], v[8:9], -v[2:3]
	s_mov_b32 s46, s48
	v_add_f64 v[0:1], v[0:1], -v[2:3]
	v_mul_f64 v[2:3], v[8:9], s[46:47]
	v_fma_f64 v[10:11], v[8:9], s[46:47], -v[2:3]
	s_mov_b32 s53, s51
	v_fmac_f64_e32 v[10:11], s[52:53], v[8:9]
	v_fmac_f64_e32 v[10:11], s[46:47], v[0:1]
	v_add_f64 v[0:1], v[2:3], v[10:11]
	v_addc_co_u32_e64 v5, s[2:3], 0, v5, vcc
	v_add_f64 v[2:3], v[0:1], -v[2:3]
	v_add_f64 v[2:3], v[10:11], -v[2:3]
	s_cbranch_execz .LBB3_4
	s_branch .LBB3_5
.LBB3_3:                                ;   in Loop: Header=BB3_1 Depth=1
                                        ; implicit-def: $vgpr5
                                        ; implicit-def: $vgpr0_vgpr1
                                        ; implicit-def: $vgpr2_vgpr3
.LBB3_4:                                ;   in Loop: Header=BB3_1 Depth=1
	v_mul_f64 v[0:1], v[54:55], s[54:55]
	v_rndne_f64_e32 v[8:9], v[0:1]
	v_fma_f64 v[0:1], s[48:49], v[8:9], v[54:55]
	v_mul_f64 v[10:11], v[8:9], s[56:57]
	v_add_f64 v[58:59], v[0:1], v[10:11]
	v_fma_f64 v[2:3], s[56:57], v[8:9], v[0:1]
	s_mov_b32 s50, s56
	v_add_f64 v[0:1], v[0:1], -v[58:59]
	v_fma_f64 v[56:57], s[50:51], v[8:9], v[10:11]
	v_add_f64 v[0:1], v[0:1], v[10:11]
	v_add_f64 v[10:11], v[58:59], -v[2:3]
	v_add_f64 v[0:1], v[10:11], v[0:1]
	v_add_f64 v[10:11], v[0:1], -v[56:57]
	v_fmac_f64_e32 v[10:11], s[58:59], v[8:9]
	v_add_f64 v[0:1], v[2:3], v[10:11]
	v_add_f64 v[2:3], v[0:1], -v[2:3]
	v_add_f64 v[2:3], v[10:11], -v[2:3]
	v_cvt_i32_f64_e32 v5, v[8:9]
.LBB3_5:                                ;   in Loop: Header=BB3_1 Depth=1
	v_mul_f64 v[8:9], v[0:1], v[0:1]
	v_pk_mov_b32 v[16:17], v[40:41], v[40:41] op_sel:[0,1]
	v_mul_f64 v[10:11], v[8:9], 0.5
	v_fmac_f64_e32 v[16:17], s[60:61], v[8:9]
	v_pk_mov_b32 v[18:19], v[42:43], v[42:43] op_sel:[0,1]
	v_add_f64 v[12:13], -v[10:11], 1.0
	v_fmac_f64_e32 v[18:19], v[8:9], v[16:17]
	v_pk_mov_b32 v[16:17], v[44:45], v[44:45] op_sel:[0,1]
	v_add_f64 v[14:15], -v[12:13], 1.0
	v_fmac_f64_e32 v[16:17], v[8:9], v[18:19]
	v_pk_mov_b32 v[18:19], v[46:47], v[46:47] op_sel:[0,1]
	v_add_f64 v[10:11], v[14:15], -v[10:11]
	v_fmac_f64_e32 v[18:19], v[8:9], v[16:17]
	v_pk_mov_b32 v[16:17], v[32:33], v[32:33] op_sel:[0,1]
	v_mul_f64 v[14:15], v[8:9], v[8:9]
	v_fmac_f64_e32 v[16:17], v[8:9], v[18:19]
	v_fma_f64 v[10:11], v[0:1], -v[2:3], v[10:11]
	v_fmac_f64_e32 v[10:11], v[14:15], v[16:17]
	v_add_f64 v[10:11], v[12:13], v[10:11]
	v_pk_mov_b32 v[12:13], v[48:49], v[48:49] op_sel:[0,1]
	v_fmac_f64_e32 v[12:13], s[62:63], v[8:9]
	v_pk_mov_b32 v[14:15], v[50:51], v[50:51] op_sel:[0,1]
	v_fmac_f64_e32 v[14:15], v[8:9], v[12:13]
	;; [unrolled: 2-line block ×4, first 2 shown]
	v_mul_f64 v[12:13], v[0:1], -v[8:9]
	v_mul_f64 v[16:17], v[2:3], 0.5
	v_fmac_f64_e32 v[16:17], v[12:13], v[14:15]
	v_fma_f64 v[2:3], v[8:9], v[16:17], -v[2:3]
	v_fmac_f64_e32 v[2:3], s[14:15], v[12:13]
	v_add_f64 v[0:1], v[0:1], -v[2:3]
	v_and_b32_e32 v2, 1, v5
	v_cndmask_b32_e64 v4, v4, v6, s[0:1]
	v_cmp_eq_u32_e32 vcc, 0, v2
	v_lshlrev_b32_e32 v2, 30, v5
	v_xor_b32_e32 v2, v2, v4
	v_cndmask_b32_e32 v1, v11, v1, vcc
	v_and_b32_e32 v2, 0x80000000, v2
	v_cndmask_b32_e32 v0, v10, v0, vcc
	v_xor_b32_e32 v1, v1, v2
	v_cmp_lg_f64_e32 vcc, s[26:27], v[54:55]
	v_cndmask_b32_e32 v0, 0, v0, vcc
	v_cndmask_b32_e32 v1, v6, v1, vcc
	s_waitcnt lgkmcnt(0)
	v_add_f64 v[0:1], s[8:9], v[0:1]
	s_add_i32 s33, s33, -1
	v_readfirstlane_b32 s8, v0
	s_cmp_eq_u32 s33, 0
	v_readfirstlane_b32 s9, v1
	s_cbranch_scc1 .LBB3_7
; %bb.6:                                ;   in Loop: Header=BB3_1 Depth=1
	s_mov_b64 s[64:65], s[8:9]
	s_branch .LBB3_1
.LBB3_7:
	v_readlane_b32 s0, v63, 0
	v_readlane_b32 s1, v63, 1
	s_load_dword s0, s[0:1], 0x0
	s_waitcnt lgkmcnt(0)
	v_cvt_f64_i32_e32 v[0:1], s0
	v_cmp_eq_f64_e32 vcc, s[8:9], v[0:1]
	s_cbranch_vccz .LBB3_9
; %bb.8:
	v_readlane_b32 s0, v63, 2
	v_mov_b32_e32 v2, 0
	v_pk_mov_b32 v[0:1], s[8:9], s[8:9] op_sel:[0,1]
	v_readlane_b32 s1, v63, 3
	s_nop 4
	global_store_dwordx2 v2, v[0:1], s[0:1]
.LBB3_9:
	s_endpgm
	.section	.rodata,"a",@progbits
	.p2align	6, 0x0
	.amdhsa_kernel _Z9sgprboundiPd
		.amdhsa_group_segment_fixed_size 0
		.amdhsa_private_segment_fixed_size 84
		.amdhsa_kernarg_size 16
		.amdhsa_user_sgpr_count 6
		.amdhsa_user_sgpr_private_segment_buffer 1
		.amdhsa_user_sgpr_dispatch_ptr 0
		.amdhsa_user_sgpr_queue_ptr 0
		.amdhsa_user_sgpr_kernarg_segment_ptr 1
		.amdhsa_user_sgpr_dispatch_id 0
		.amdhsa_user_sgpr_flat_scratch_init 0
		.amdhsa_user_sgpr_kernarg_preload_length 0
		.amdhsa_user_sgpr_kernarg_preload_offset 0
		.amdhsa_user_sgpr_private_segment_size 0
		.amdhsa_uses_dynamic_stack 0
		.amdhsa_system_sgpr_private_segment_wavefront_offset 1
		.amdhsa_system_sgpr_workgroup_id_x 1
		.amdhsa_system_sgpr_workgroup_id_y 0
		.amdhsa_system_sgpr_workgroup_id_z 0
		.amdhsa_system_sgpr_workgroup_info 0
		.amdhsa_system_vgpr_workitem_id 0
		.amdhsa_next_free_vgpr 64
		.amdhsa_next_free_sgpr 76
		.amdhsa_accum_offset 64
		.amdhsa_reserve_vcc 1
		.amdhsa_reserve_flat_scratch 0
		.amdhsa_float_round_mode_32 0
		.amdhsa_float_round_mode_16_64 0
		.amdhsa_float_denorm_mode_32 3
		.amdhsa_float_denorm_mode_16_64 3
		.amdhsa_dx10_clamp 1
		.amdhsa_ieee_mode 1
		.amdhsa_fp16_overflow 0
		.amdhsa_tg_split 0
		.amdhsa_exception_fp_ieee_invalid_op 0
		.amdhsa_exception_fp_denorm_src 0
		.amdhsa_exception_fp_ieee_div_zero 0
		.amdhsa_exception_fp_ieee_overflow 0
		.amdhsa_exception_fp_ieee_underflow 0
		.amdhsa_exception_fp_ieee_inexact 0
		.amdhsa_exception_int_div_zero 0
	.end_amdhsa_kernel
	.text
.Lfunc_end3:
	.size	_Z9sgprboundiPd, .Lfunc_end3-_Z9sgprboundiPd
                                        ; -- End function
	.section	.AMDGPU.csdata,"",@progbits
; Kernel info:
; codeLenInByte = 3800
; NumSgprs: 80
; NumVgprs: 64
; NumAgprs: 0
; TotalNumVgprs: 64
; ScratchSize: 84
; MemoryBound: 0
; FloatMode: 240
; IeeeMode: 1
; LDSByteSize: 0 bytes/workgroup (compile time only)
; SGPRBlocks: 9
; VGPRBlocks: 7
; NumSGPRsForWavesPerEU: 80
; NumVGPRsForWavesPerEU: 64
; AccumOffset: 64
; Occupancy: 8
; WaveLimiterHint : 0
; COMPUTE_PGM_RSRC2:SCRATCH_EN: 1
; COMPUTE_PGM_RSRC2:USER_SGPR: 6
; COMPUTE_PGM_RSRC2:TRAP_HANDLER: 0
; COMPUTE_PGM_RSRC2:TGID_X_EN: 1
; COMPUTE_PGM_RSRC2:TGID_Y_EN: 0
; COMPUTE_PGM_RSRC2:TGID_Z_EN: 0
; COMPUTE_PGM_RSRC2:TIDIG_COMP_CNT: 0
; COMPUTE_PGM_RSRC3_GFX90A:ACCUM_OFFSET: 15
; COMPUTE_PGM_RSRC3_GFX90A:TG_SPLIT: 0
	.text
	.p2alignl 6, 3212836864
	.fill 256, 4, 3212836864
	.type	__hip_cuid_8814fc4233ab3213,@object ; @__hip_cuid_8814fc4233ab3213
	.section	.bss,"aw",@nobits
	.globl	__hip_cuid_8814fc4233ab3213
__hip_cuid_8814fc4233ab3213:
	.byte	0                               ; 0x0
	.size	__hip_cuid_8814fc4233ab3213, 1

	.ident	"AMD clang version 19.0.0git (https://github.com/RadeonOpenCompute/llvm-project roc-6.4.0 25133 c7fe45cf4b819c5991fe208aaa96edf142730f1d)"
	.section	".note.GNU-stack","",@progbits
	.addrsig
	.addrsig_sym __hip_cuid_8814fc4233ab3213
	.amdgpu_metadata
---
amdhsa.kernels:
  - .agpr_count:     0
    .args:
      - .offset:         0
        .size:           4
        .value_kind:     by_value
      - .address_space:  global
        .offset:         8
        .size:           8
        .value_kind:     global_buffer
    .group_segment_fixed_size: 0
    .kernarg_segment_align: 8
    .kernarg_segment_size: 16
    .language:       OpenCL C
    .language_version:
      - 2
      - 0
    .max_flat_workgroup_size: 1024
    .name:           _Z5emptyiPd
    .private_segment_fixed_size: 0
    .sgpr_count:     4
    .sgpr_spill_count: 0
    .symbol:         _Z5emptyiPd.kd
    .uniform_work_group_size: 1
    .uses_dynamic_stack: false
    .vgpr_count:     0
    .vgpr_spill_count: 0
    .wavefront_size: 64
  - .agpr_count:     0
    .args:
      - .offset:         0
        .size:           4
        .value_kind:     by_value
      - .address_space:  global
        .offset:         8
        .size:           8
        .value_kind:     global_buffer
    .group_segment_fixed_size: 0
    .kernarg_segment_align: 8
    .kernarg_segment_size: 16
    .language:       OpenCL C
    .language_version:
      - 2
      - 0
    .max_flat_workgroup_size: 256
    .name:           _Z9vgprboundiPd
    .private_segment_fixed_size: 0
    .sgpr_count:     67
    .sgpr_spill_count: 0
    .symbol:         _Z9vgprboundiPd.kd
    .uniform_work_group_size: 1
    .uses_dynamic_stack: false
    .vgpr_count:     123
    .vgpr_spill_count: 0
    .wavefront_size: 64
  - .agpr_count:     0
    .args:
      - .offset:         0
        .size:           4
        .value_kind:     by_value
      - .address_space:  global
        .offset:         8
        .size:           8
        .value_kind:     global_buffer
      - .offset:         16
        .size:           4
        .value_kind:     hidden_block_count_x
      - .offset:         20
        .size:           4
        .value_kind:     hidden_block_count_y
      - .offset:         24
        .size:           4
        .value_kind:     hidden_block_count_z
      - .offset:         28
        .size:           2
        .value_kind:     hidden_group_size_x
      - .offset:         30
        .size:           2
        .value_kind:     hidden_group_size_y
      - .offset:         32
        .size:           2
        .value_kind:     hidden_group_size_z
      - .offset:         34
        .size:           2
        .value_kind:     hidden_remainder_x
      - .offset:         36
        .size:           2
        .value_kind:     hidden_remainder_y
      - .offset:         38
        .size:           2
        .value_kind:     hidden_remainder_z
      - .offset:         56
        .size:           8
        .value_kind:     hidden_global_offset_x
      - .offset:         64
        .size:           8
        .value_kind:     hidden_global_offset_y
      - .offset:         72
        .size:           8
        .value_kind:     hidden_global_offset_z
      - .offset:         80
        .size:           2
        .value_kind:     hidden_grid_dims
    .group_segment_fixed_size: 65536
    .kernarg_segment_align: 8
    .kernarg_segment_size: 272
    .language:       OpenCL C
    .language_version:
      - 2
      - 0
    .max_flat_workgroup_size: 256
    .name:           _Z8ldsboundiPd
    .private_segment_fixed_size: 0
    .sgpr_count:     70
    .sgpr_spill_count: 0
    .symbol:         _Z8ldsboundiPd.kd
    .uniform_work_group_size: 1
    .uses_dynamic_stack: false
    .vgpr_count:     96
    .vgpr_spill_count: 0
    .wavefront_size: 64
  - .agpr_count:     0
    .args:
      - .offset:         0
        .size:           4
        .value_kind:     by_value
      - .address_space:  global
        .offset:         8
        .size:           8
        .value_kind:     global_buffer
    .group_segment_fixed_size: 0
    .kernarg_segment_align: 8
    .kernarg_segment_size: 16
    .language:       OpenCL C
    .language_version:
      - 2
      - 0
    .max_flat_workgroup_size: 1024
    .name:           _Z9sgprboundiPd
    .private_segment_fixed_size: 84
    .sgpr_count:     80
    .sgpr_spill_count: 4
    .symbol:         _Z9sgprboundiPd.kd
    .uniform_work_group_size: 1
    .uses_dynamic_stack: false
    .vgpr_count:     64
    .vgpr_spill_count: 20
    .wavefront_size: 64
amdhsa.target:   amdgcn-amd-amdhsa--gfx90a
amdhsa.version:
  - 1
  - 2
...

	.end_amdgpu_metadata
